;; amdgpu-corpus repo=ROCm/rocFFT kind=compiled arch=gfx906 opt=O3
	.text
	.amdgcn_target "amdgcn-amd-amdhsa--gfx906"
	.amdhsa_code_object_version 6
	.protected	fft_rtc_back_len1008_factors_2_2_2_2_3_3_7_wgs_56_tpt_56_halfLds_half_ip_CI_unitstride_sbrr_R2C_dirReg ; -- Begin function fft_rtc_back_len1008_factors_2_2_2_2_3_3_7_wgs_56_tpt_56_halfLds_half_ip_CI_unitstride_sbrr_R2C_dirReg
	.globl	fft_rtc_back_len1008_factors_2_2_2_2_3_3_7_wgs_56_tpt_56_halfLds_half_ip_CI_unitstride_sbrr_R2C_dirReg
	.p2align	8
	.type	fft_rtc_back_len1008_factors_2_2_2_2_3_3_7_wgs_56_tpt_56_halfLds_half_ip_CI_unitstride_sbrr_R2C_dirReg,@function
fft_rtc_back_len1008_factors_2_2_2_2_3_3_7_wgs_56_tpt_56_halfLds_half_ip_CI_unitstride_sbrr_R2C_dirReg: ; @fft_rtc_back_len1008_factors_2_2_2_2_3_3_7_wgs_56_tpt_56_halfLds_half_ip_CI_unitstride_sbrr_R2C_dirReg
; %bb.0:
	s_load_dwordx2 s[12:13], s[4:5], 0x50
	s_load_dwordx4 s[8:11], s[4:5], 0x0
	s_load_dwordx2 s[2:3], s[4:5], 0x18
	v_mul_u32_u24_e32 v1, 0x493, v0
	v_add_u32_sdwa v5, s6, v1 dst_sel:DWORD dst_unused:UNUSED_PAD src0_sel:DWORD src1_sel:WORD_1
	v_mov_b32_e32 v3, 0
	s_waitcnt lgkmcnt(0)
	v_cmp_lt_u64_e64 s[0:1], s[10:11], 2
	v_mov_b32_e32 v1, 0
	v_mov_b32_e32 v6, v3
	s_and_b64 vcc, exec, s[0:1]
	v_mov_b32_e32 v2, 0
	s_cbranch_vccnz .LBB0_8
; %bb.1:
	s_load_dwordx2 s[0:1], s[4:5], 0x10
	s_add_u32 s6, s2, 8
	s_addc_u32 s7, s3, 0
	v_mov_b32_e32 v1, 0
	v_mov_b32_e32 v2, 0
	s_waitcnt lgkmcnt(0)
	s_add_u32 s14, s0, 8
	s_addc_u32 s15, s1, 0
	s_mov_b64 s[16:17], 1
.LBB0_2:                                ; =>This Inner Loop Header: Depth=1
	s_load_dwordx2 s[18:19], s[14:15], 0x0
                                        ; implicit-def: $vgpr7_vgpr8
	s_waitcnt lgkmcnt(0)
	v_or_b32_e32 v4, s19, v6
	v_cmp_ne_u64_e32 vcc, 0, v[3:4]
	s_and_saveexec_b64 s[0:1], vcc
	s_xor_b64 s[20:21], exec, s[0:1]
	s_cbranch_execz .LBB0_4
; %bb.3:                                ;   in Loop: Header=BB0_2 Depth=1
	v_cvt_f32_u32_e32 v4, s18
	v_cvt_f32_u32_e32 v7, s19
	s_sub_u32 s0, 0, s18
	s_subb_u32 s1, 0, s19
	v_mac_f32_e32 v4, 0x4f800000, v7
	v_rcp_f32_e32 v4, v4
	v_mul_f32_e32 v4, 0x5f7ffffc, v4
	v_mul_f32_e32 v7, 0x2f800000, v4
	v_trunc_f32_e32 v7, v7
	v_mac_f32_e32 v4, 0xcf800000, v7
	v_cvt_u32_f32_e32 v7, v7
	v_cvt_u32_f32_e32 v4, v4
	v_mul_lo_u32 v8, s0, v7
	v_mul_hi_u32 v9, s0, v4
	v_mul_lo_u32 v11, s1, v4
	v_mul_lo_u32 v10, s0, v4
	v_add_u32_e32 v8, v9, v8
	v_add_u32_e32 v8, v8, v11
	v_mul_hi_u32 v9, v4, v10
	v_mul_lo_u32 v11, v4, v8
	v_mul_hi_u32 v13, v4, v8
	v_mul_hi_u32 v12, v7, v10
	v_mul_lo_u32 v10, v7, v10
	v_mul_hi_u32 v14, v7, v8
	v_add_co_u32_e32 v9, vcc, v9, v11
	v_addc_co_u32_e32 v11, vcc, 0, v13, vcc
	v_mul_lo_u32 v8, v7, v8
	v_add_co_u32_e32 v9, vcc, v9, v10
	v_addc_co_u32_e32 v9, vcc, v11, v12, vcc
	v_addc_co_u32_e32 v10, vcc, 0, v14, vcc
	v_add_co_u32_e32 v8, vcc, v9, v8
	v_addc_co_u32_e32 v9, vcc, 0, v10, vcc
	v_add_co_u32_e32 v4, vcc, v4, v8
	v_addc_co_u32_e32 v7, vcc, v7, v9, vcc
	v_mul_lo_u32 v8, s0, v7
	v_mul_hi_u32 v9, s0, v4
	v_mul_lo_u32 v10, s1, v4
	v_mul_lo_u32 v11, s0, v4
	v_add_u32_e32 v8, v9, v8
	v_add_u32_e32 v8, v8, v10
	v_mul_lo_u32 v12, v4, v8
	v_mul_hi_u32 v13, v4, v11
	v_mul_hi_u32 v14, v4, v8
	;; [unrolled: 1-line block ×3, first 2 shown]
	v_mul_lo_u32 v11, v7, v11
	v_mul_hi_u32 v9, v7, v8
	v_add_co_u32_e32 v12, vcc, v13, v12
	v_addc_co_u32_e32 v13, vcc, 0, v14, vcc
	v_mul_lo_u32 v8, v7, v8
	v_add_co_u32_e32 v11, vcc, v12, v11
	v_addc_co_u32_e32 v10, vcc, v13, v10, vcc
	v_addc_co_u32_e32 v9, vcc, 0, v9, vcc
	v_add_co_u32_e32 v8, vcc, v10, v8
	v_addc_co_u32_e32 v9, vcc, 0, v9, vcc
	v_add_co_u32_e32 v4, vcc, v4, v8
	v_addc_co_u32_e32 v9, vcc, v7, v9, vcc
	v_mad_u64_u32 v[7:8], s[0:1], v5, v9, 0
	v_mul_hi_u32 v10, v5, v4
	v_add_co_u32_e32 v11, vcc, v10, v7
	v_addc_co_u32_e32 v12, vcc, 0, v8, vcc
	v_mad_u64_u32 v[7:8], s[0:1], v6, v4, 0
	v_mad_u64_u32 v[9:10], s[0:1], v6, v9, 0
	v_add_co_u32_e32 v4, vcc, v11, v7
	v_addc_co_u32_e32 v4, vcc, v12, v8, vcc
	v_addc_co_u32_e32 v7, vcc, 0, v10, vcc
	v_add_co_u32_e32 v4, vcc, v4, v9
	v_addc_co_u32_e32 v9, vcc, 0, v7, vcc
	v_mul_lo_u32 v10, s19, v4
	v_mul_lo_u32 v11, s18, v9
	v_mad_u64_u32 v[7:8], s[0:1], s18, v4, 0
	v_add3_u32 v8, v8, v11, v10
	v_sub_u32_e32 v10, v6, v8
	v_mov_b32_e32 v11, s19
	v_sub_co_u32_e32 v7, vcc, v5, v7
	v_subb_co_u32_e64 v10, s[0:1], v10, v11, vcc
	v_subrev_co_u32_e64 v11, s[0:1], s18, v7
	v_subbrev_co_u32_e64 v10, s[0:1], 0, v10, s[0:1]
	v_cmp_le_u32_e64 s[0:1], s19, v10
	v_cndmask_b32_e64 v12, 0, -1, s[0:1]
	v_cmp_le_u32_e64 s[0:1], s18, v11
	v_cndmask_b32_e64 v11, 0, -1, s[0:1]
	v_cmp_eq_u32_e64 s[0:1], s19, v10
	v_cndmask_b32_e64 v10, v12, v11, s[0:1]
	v_add_co_u32_e64 v11, s[0:1], 2, v4
	v_addc_co_u32_e64 v12, s[0:1], 0, v9, s[0:1]
	v_add_co_u32_e64 v13, s[0:1], 1, v4
	v_addc_co_u32_e64 v14, s[0:1], 0, v9, s[0:1]
	v_subb_co_u32_e32 v8, vcc, v6, v8, vcc
	v_cmp_ne_u32_e64 s[0:1], 0, v10
	v_cmp_le_u32_e32 vcc, s19, v8
	v_cndmask_b32_e64 v10, v14, v12, s[0:1]
	v_cndmask_b32_e64 v12, 0, -1, vcc
	v_cmp_le_u32_e32 vcc, s18, v7
	v_cndmask_b32_e64 v7, 0, -1, vcc
	v_cmp_eq_u32_e32 vcc, s19, v8
	v_cndmask_b32_e32 v7, v12, v7, vcc
	v_cmp_ne_u32_e32 vcc, 0, v7
	v_cndmask_b32_e64 v7, v13, v11, s[0:1]
	v_cndmask_b32_e32 v8, v9, v10, vcc
	v_cndmask_b32_e32 v7, v4, v7, vcc
.LBB0_4:                                ;   in Loop: Header=BB0_2 Depth=1
	s_andn2_saveexec_b64 s[0:1], s[20:21]
	s_cbranch_execz .LBB0_6
; %bb.5:                                ;   in Loop: Header=BB0_2 Depth=1
	v_cvt_f32_u32_e32 v4, s18
	s_sub_i32 s20, 0, s18
	v_rcp_iflag_f32_e32 v4, v4
	v_mul_f32_e32 v4, 0x4f7ffffe, v4
	v_cvt_u32_f32_e32 v4, v4
	v_mul_lo_u32 v7, s20, v4
	v_mul_hi_u32 v7, v4, v7
	v_add_u32_e32 v4, v4, v7
	v_mul_hi_u32 v4, v5, v4
	v_mul_lo_u32 v7, v4, s18
	v_add_u32_e32 v8, 1, v4
	v_sub_u32_e32 v7, v5, v7
	v_subrev_u32_e32 v9, s18, v7
	v_cmp_le_u32_e32 vcc, s18, v7
	v_cndmask_b32_e32 v7, v7, v9, vcc
	v_cndmask_b32_e32 v4, v4, v8, vcc
	v_add_u32_e32 v8, 1, v4
	v_cmp_le_u32_e32 vcc, s18, v7
	v_cndmask_b32_e32 v7, v4, v8, vcc
	v_mov_b32_e32 v8, v3
.LBB0_6:                                ;   in Loop: Header=BB0_2 Depth=1
	s_or_b64 exec, exec, s[0:1]
	v_mul_lo_u32 v4, v8, s18
	v_mul_lo_u32 v11, v7, s19
	v_mad_u64_u32 v[9:10], s[0:1], v7, s18, 0
	s_load_dwordx2 s[0:1], s[6:7], 0x0
	s_add_u32 s16, s16, 1
	v_add3_u32 v4, v10, v11, v4
	v_sub_co_u32_e32 v5, vcc, v5, v9
	v_subb_co_u32_e32 v4, vcc, v6, v4, vcc
	s_waitcnt lgkmcnt(0)
	v_mul_lo_u32 v4, s0, v4
	v_mul_lo_u32 v6, s1, v5
	v_mad_u64_u32 v[1:2], s[0:1], s0, v5, v[1:2]
	s_addc_u32 s17, s17, 0
	s_add_u32 s6, s6, 8
	v_add3_u32 v2, v6, v2, v4
	v_mov_b32_e32 v4, s10
	v_mov_b32_e32 v5, s11
	s_addc_u32 s7, s7, 0
	v_cmp_ge_u64_e32 vcc, s[16:17], v[4:5]
	s_add_u32 s14, s14, 8
	s_addc_u32 s15, s15, 0
	s_cbranch_vccnz .LBB0_9
; %bb.7:                                ;   in Loop: Header=BB0_2 Depth=1
	v_mov_b32_e32 v5, v7
	v_mov_b32_e32 v6, v8
	s_branch .LBB0_2
.LBB0_8:
	v_mov_b32_e32 v8, v6
	v_mov_b32_e32 v7, v5
.LBB0_9:
	s_lshl_b64 s[0:1], s[10:11], 3
	s_add_u32 s0, s2, s0
	s_addc_u32 s1, s3, s1
	s_load_dwordx2 s[2:3], s[0:1], 0x0
	s_load_dwordx2 s[6:7], s[4:5], 0x20
                                        ; implicit-def: $vgpr17
                                        ; implicit-def: $vgpr10
                                        ; implicit-def: $vgpr12
                                        ; implicit-def: $vgpr14
                                        ; implicit-def: $vgpr16
	s_waitcnt lgkmcnt(0)
	v_mad_u64_u32 v[3:4], s[0:1], s2, v7, v[1:2]
	s_mov_b32 s0, 0x4924925
	v_mul_hi_u32 v1, v0, s0
	v_mul_lo_u32 v5, s2, v8
	v_mul_lo_u32 v6, s3, v7
	v_cmp_gt_u64_e32 vcc, s[6:7], v[7:8]
	v_mul_u32_u24_e32 v1, 56, v1
	v_cmp_le_u64_e64 s[0:1], s[6:7], v[7:8]
	v_sub_u32_e32 v0, v0, v1
	v_add3_u32 v4, v6, v4, v5
	v_add_u32_e32 v2, 56, v0
                                        ; implicit-def: $vgpr6
                                        ; implicit-def: $vgpr8
	s_and_saveexec_b64 s[2:3], s[0:1]
	s_xor_b64 s[0:1], exec, s[2:3]
; %bb.10:
	v_add_u32_e32 v2, 56, v0
	v_add_u32_e32 v17, 0x70, v0
	;; [unrolled: 1-line block ×7, first 2 shown]
	v_or_b32_e32 v16, 0x1c0, v0
; %bb.11:
	s_or_saveexec_b64 s[2:3], s[0:1]
	v_lshlrev_b64 v[4:5], 2, v[3:4]
	s_xor_b64 exec, exec, s[2:3]
	s_cbranch_execz .LBB0_13
; %bb.12:
	v_mov_b32_e32 v1, 0
	v_mov_b32_e32 v3, s13
	v_add_co_u32_e64 v8, s[0:1], s12, v4
	v_lshlrev_b64 v[6:7], 2, v[0:1]
	v_addc_co_u32_e64 v3, s[0:1], v3, v5, s[0:1]
	v_add_co_u32_e64 v6, s[0:1], v8, v6
	v_addc_co_u32_e64 v7, s[0:1], v3, v7, s[0:1]
	global_load_dword v1, v[6:7], off
	global_load_dword v3, v[6:7], off offset:224
	global_load_dword v9, v[6:7], off offset:448
	;; [unrolled: 1-line block ×17, first 2 shown]
	v_lshl_add_u32 v7, v0, 2, 0
	v_add_u32_e32 v17, 0x70, v0
	v_add_u32_e32 v6, 0xa8, v0
	;; [unrolled: 1-line block ×10, first 2 shown]
	s_waitcnt vmcnt(16)
	ds_write2_b32 v7, v1, v3 offset1:56
	s_waitcnt vmcnt(14)
	ds_write2_b32 v7, v9, v11 offset0:112 offset1:168
	s_waitcnt vmcnt(12)
	ds_write2_b32 v29, v13, v15 offset0:96 offset1:152
	;; [unrolled: 2-line block ×8, first 2 shown]
	v_or_b32_e32 v16, 0x1c0, v0
.LBB0_13:
	s_or_b64 exec, exec, s[2:3]
	v_lshlrev_b32_e32 v1, 2, v0
	v_add_u32_e32 v38, 0, v1
	v_add_u32_e32 v15, 0x400, v38
	s_waitcnt lgkmcnt(0)
	; wave barrier
	s_waitcnt lgkmcnt(0)
	v_add_u32_e32 v24, 0xc00, v38
	v_add_u32_e32 v23, 0x200, v38
	;; [unrolled: 1-line block ×3, first 2 shown]
	ds_read2_b32 v[18:19], v15 offset0:192 offset1:248
	ds_read2_b32 v[20:21], v24 offset0:128 offset1:184
	;; [unrolled: 1-line block ×7, first 2 shown]
	ds_read2_b32 v[36:37], v38 offset1:56
	ds_read2_b32 v[39:40], v46 offset0:48 offset1:104
	v_add_u32_e32 v3, v38, v1
	s_waitcnt lgkmcnt(0)
	; wave barrier
	s_waitcnt lgkmcnt(0)
	v_pk_add_f16 v7, v36, v19 neg_lo:[0,1] neg_hi:[0,1]
	v_pk_fma_f16 v9, v36, 2.0, v7 op_sel_hi:[1,0,1] neg_lo:[0,0,1] neg_hi:[0,0,1]
	ds_write2_b32 v3, v9, v7 offset1:1
	v_pk_add_f16 v3, v37, v39 neg_lo:[0,1] neg_hi:[0,1]
	v_pk_fma_f16 v7, v37, 2.0, v3 op_sel_hi:[1,0,1] neg_lo:[0,0,1] neg_hi:[0,0,1]
	v_lshl_add_u32 v47, v2, 3, 0
	ds_write2_b32 v47, v7, v3 offset1:1
	v_pk_add_f16 v3, v34, v40 neg_lo:[0,1] neg_hi:[0,1]
	v_lshl_add_u32 v25, v17, 3, 0
	v_pk_fma_f16 v7, v34, 2.0, v3 op_sel_hi:[1,0,1] neg_lo:[0,0,1] neg_hi:[0,0,1]
	ds_write2_b32 v25, v7, v3 offset1:1
	v_pk_add_f16 v3, v35, v32 neg_lo:[0,1] neg_hi:[0,1]
	v_pk_fma_f16 v7, v35, 2.0, v3 op_sel_hi:[1,0,1] neg_lo:[0,0,1] neg_hi:[0,0,1]
	v_lshl_add_u32 v44, v6, 3, 0
	ds_write2_b32 v44, v7, v3 offset1:1
	v_pk_add_f16 v3, v30, v33 neg_lo:[0,1] neg_hi:[0,1]
	v_lshl_add_u32 v43, v8, 3, 0
	;; [unrolled: 8-line block ×3, first 2 shown]
	v_pk_fma_f16 v7, v26, 2.0, v3 op_sel_hi:[1,0,1] neg_lo:[0,0,1] neg_hi:[0,0,1]
	ds_write2_b32 v41, v7, v3 offset1:1
	v_pk_add_f16 v3, v27, v20 neg_lo:[0,1] neg_hi:[0,1]
	v_pk_fma_f16 v7, v27, 2.0, v3 op_sel_hi:[1,0,1] neg_lo:[0,0,1] neg_hi:[0,0,1]
	v_lshl_add_u32 v40, v14, 3, 0
	ds_write2_b32 v40, v7, v3 offset1:1
	v_pk_add_f16 v3, v18, v21 neg_lo:[0,1] neg_hi:[0,1]
	v_pk_fma_f16 v7, v18, 2.0, v3 op_sel_hi:[1,0,1] neg_lo:[0,0,1] neg_hi:[0,0,1]
	v_lshl_add_u32 v39, v16, 3, 0
	v_and_b32_e32 v37, 1, v0
	ds_write2_b32 v39, v7, v3 offset1:1
	v_lshlrev_b32_e32 v3, 2, v37
	s_waitcnt lgkmcnt(0)
	; wave barrier
	s_waitcnt lgkmcnt(0)
	global_load_dword v50, v3, s[8:9]
	s_movk_i32 s1, 0x7c
	v_lshlrev_b32_e32 v51, 1, v0
	v_lshlrev_b32_e32 v48, 2, v17
	;; [unrolled: 1-line block ×6, first 2 shown]
	v_and_or_b32 v18, v51, s1, v37
	v_add_u32_e32 v27, 0x600, v38
	v_sub_u32_e32 v20, v25, v48
	v_sub_u32_e32 v21, v44, v3
	;; [unrolled: 1-line block ×5, first 2 shown]
	v_lshl_add_u32 v52, v18, 2, 0
	ds_read2_b32 v[18:19], v27 offset0:120 offset1:176
	ds_read_b32 v53, v21
	ds_read_b32 v54, v22
	;; [unrolled: 1-line block ×4, first 2 shown]
	ds_read_u16 v56, v38 offset:3362
	ds_read_b32 v57, v38 offset:3808
	ds_read_b32 v58, v20
	ds_read_b32 v59, v26
	s_mov_b32 s0, 0xffff
	v_lshlrev_b32_e32 v11, 2, v12
	v_lshlrev_b32_e32 v13, 2, v14
	v_sub_u32_e32 v29, v41, v11
	v_lshlrev_b32_e32 v45, 2, v16
	v_add_u32_e32 v30, 0xa00, v38
	v_sub_u32_e32 v61, v40, v13
	v_sub_u32_e32 v62, v39, v45
	s_movk_i32 s1, 0xfc
	s_movk_i32 s2, 0x2fc
	s_movk_i32 s3, 0x3aee
	s_waitcnt vmcnt(0) lgkmcnt(8)
	v_pk_mul_f16 v32, v50, v18 op_sel:[0,1]
	v_pk_fma_f16 v33, v50, v18, v32 op_sel:[0,0,1] op_sel_hi:[1,1,0]
	v_pk_fma_f16 v18, v50, v18, v32 op_sel:[0,0,1] op_sel_hi:[1,0,0] neg_lo:[1,0,0] neg_hi:[1,0,0]
	v_bfi_b32 v18, s0, v33, v18
	s_waitcnt lgkmcnt(4)
	v_pk_add_f16 v18, v31, v18 neg_lo:[0,1] neg_hi:[0,1]
	v_pk_fma_f16 v60, v31, 2.0, v18 op_sel_hi:[1,0,1] neg_lo:[0,0,1] neg_hi:[0,0,1]
	ds_read_b32 v63, v29
	ds_read_b32 v64, v61
	;; [unrolled: 1-line block ×3, first 2 shown]
	ds_read2_b32 v[31:32], v46 offset0:104 offset1:160
	ds_read2_b32 v[33:34], v30 offset0:88 offset1:144
	ds_read2_b32 v[35:36], v24 offset0:72 offset1:128
	s_waitcnt lgkmcnt(0)
	; wave barrier
	s_waitcnt lgkmcnt(0)
	ds_write2_b32 v52, v60, v18 offset1:2
	v_pk_mul_f16 v18, v50, v19 op_sel:[0,1]
	v_pk_fma_f16 v52, v50, v19, v18 op_sel:[0,0,1] op_sel_hi:[1,1,0]
	v_pk_fma_f16 v18, v50, v19, v18 op_sel:[0,0,1] op_sel_hi:[1,0,0] neg_lo:[1,0,0] neg_hi:[1,0,0]
	v_bfi_b32 v18, s0, v52, v18
	v_lshlrev_b32_e32 v52, 1, v2
	v_and_or_b32 v19, v52, s1, v37
	v_pk_add_f16 v18, v59, v18 neg_lo:[0,1] neg_hi:[0,1]
	v_lshl_add_u32 v19, v19, 2, 0
	v_pk_fma_f16 v59, v59, 2.0, v18 op_sel_hi:[1,0,1] neg_lo:[0,0,1] neg_hi:[0,0,1]
	ds_write2_b32 v19, v59, v18 offset1:2
	v_pk_mul_f16 v18, v50, v31 op_sel:[0,1]
	v_pk_fma_f16 v19, v50, v31, v18 op_sel:[0,0,1] op_sel_hi:[1,1,0]
	v_pk_fma_f16 v18, v50, v31, v18 op_sel:[0,0,1] op_sel_hi:[1,0,0] neg_lo:[1,0,0] neg_hi:[1,0,0]
	v_bfi_b32 v18, s0, v19, v18
	s_movk_i32 s1, 0x1fc
	v_lshlrev_b32_e32 v59, 1, v17
	v_and_or_b32 v19, v59, s1, v37
	v_pk_add_f16 v18, v58, v18 neg_lo:[0,1] neg_hi:[0,1]
	v_lshl_add_u32 v19, v19, 2, 0
	v_pk_fma_f16 v31, v58, 2.0, v18 op_sel_hi:[1,0,1] neg_lo:[0,0,1] neg_hi:[0,0,1]
	ds_write2_b32 v19, v31, v18 offset1:2
	v_pk_mul_f16 v18, v50, v32 op_sel:[0,1]
	v_pk_fma_f16 v19, v50, v32, v18 op_sel:[0,0,1] op_sel_hi:[1,1,0]
	v_pk_fma_f16 v18, v50, v32, v18 op_sel:[0,0,1] op_sel_hi:[1,0,0] neg_lo:[1,0,0] neg_hi:[1,0,0]
	v_bfi_b32 v18, s0, v19, v18
	v_lshlrev_b32_e32 v58, 1, v6
	v_and_or_b32 v19, v58, s1, v37
	v_pk_add_f16 v18, v53, v18 neg_lo:[0,1] neg_hi:[0,1]
	v_lshl_add_u32 v19, v19, 2, 0
	v_pk_fma_f16 v31, v53, 2.0, v18 op_sel_hi:[1,0,1] neg_lo:[0,0,1] neg_hi:[0,0,1]
	ds_write2_b32 v19, v31, v18 offset1:2
	v_pk_mul_f16 v18, v50, v33 op_sel:[0,1]
	v_pk_fma_f16 v19, v50, v33, v18 op_sel:[0,0,1] op_sel_hi:[1,1,0]
	v_pk_fma_f16 v18, v50, v33, v18 op_sel:[0,0,1] op_sel_hi:[1,0,0] neg_lo:[1,0,0] neg_hi:[1,0,0]
	v_bfi_b32 v18, s0, v19, v18
	s_movk_i32 s1, 0x3fc
	v_lshlrev_b32_e32 v53, 1, v8
	v_and_or_b32 v19, v53, s1, v37
	v_pk_add_f16 v18, v54, v18 neg_lo:[0,1] neg_hi:[0,1]
	v_lshl_add_u32 v19, v19, 2, 0
	v_pk_fma_f16 v31, v54, 2.0, v18 op_sel_hi:[1,0,1] neg_lo:[0,0,1] neg_hi:[0,0,1]
	ds_write2_b32 v19, v31, v18 offset1:2
	v_pk_mul_f16 v18, v50, v34 op_sel:[0,1]
	v_pk_fma_f16 v19, v50, v34, v18 op_sel:[0,0,1] op_sel_hi:[1,1,0]
	v_pk_fma_f16 v18, v50, v34, v18 op_sel:[0,0,1] op_sel_hi:[1,0,0] neg_lo:[1,0,0] neg_hi:[1,0,0]
	v_bfi_b32 v18, s0, v19, v18
	v_lshlrev_b32_e32 v54, 1, v10
	v_and_or_b32 v19, v54, s2, v37
	v_pk_add_f16 v18, v55, v18 neg_lo:[0,1] neg_hi:[0,1]
	v_lshl_add_u32 v19, v19, 2, 0
	v_pk_fma_f16 v31, v55, 2.0, v18 op_sel_hi:[1,0,1] neg_lo:[0,0,1] neg_hi:[0,0,1]
	ds_write2_b32 v19, v31, v18 offset1:2
	v_pk_mul_f16 v18, v56, v50 op_sel_hi:[0,1]
	v_pk_fma_f16 v19, v50, v35, v18 op_sel:[0,0,1] op_sel_hi:[1,1,0]
	v_pk_fma_f16 v18, v50, v35, v18 op_sel:[0,0,1] op_sel_hi:[1,0,0] neg_lo:[1,0,0] neg_hi:[1,0,0]
	v_bfi_b32 v18, s0, v19, v18
	v_lshlrev_b32_e32 v55, 1, v12
	v_and_or_b32 v19, v55, s1, v37
	v_pk_add_f16 v18, v63, v18 neg_lo:[0,1] neg_hi:[0,1]
	v_lshl_add_u32 v19, v19, 2, 0
	v_pk_fma_f16 v31, v63, 2.0, v18 op_sel_hi:[1,0,1] neg_lo:[0,0,1] neg_hi:[0,0,1]
	ds_write2_b32 v19, v31, v18 offset1:2
	v_pk_mul_f16 v18, v36, v50 op_sel:[0,1]
	v_pk_fma_f16 v19, v36, v50, v18 op_sel:[0,0,1] op_sel_hi:[1,1,0]
	v_pk_fma_f16 v18, v36, v50, v18 op_sel:[0,0,1] op_sel_hi:[1,0,0] neg_lo:[0,0,1] neg_hi:[0,0,1]
	v_bfi_b32 v18, s0, v19, v18
	v_lshlrev_b32_e32 v56, 1, v14
	v_and_or_b32 v19, v56, s1, v37
	v_pk_add_f16 v18, v64, v18 neg_lo:[0,1] neg_hi:[0,1]
	v_lshl_add_u32 v19, v19, 2, 0
	v_pk_fma_f16 v31, v64, 2.0, v18 op_sel_hi:[1,0,1] neg_lo:[0,0,1] neg_hi:[0,0,1]
	ds_write2_b32 v19, v31, v18 offset1:2
	v_pk_mul_f16 v18, v57, v50 op_sel:[0,1]
	v_pk_fma_f16 v19, v57, v50, v18 op_sel:[0,0,1] op_sel_hi:[1,1,0]
	v_pk_fma_f16 v18, v57, v50, v18 op_sel:[0,0,1] op_sel_hi:[1,0,0] neg_lo:[0,0,1] neg_hi:[0,0,1]
	v_bfi_b32 v18, s0, v19, v18
	v_lshlrev_b32_e32 v50, 1, v16
	v_and_or_b32 v19, v50, s1, v37
	v_pk_add_f16 v18, v65, v18 neg_lo:[0,1] neg_hi:[0,1]
	v_lshl_add_u32 v19, v19, 2, 0
	v_pk_fma_f16 v31, v65, 2.0, v18 op_sel_hi:[1,0,1] neg_lo:[0,0,1] neg_hi:[0,0,1]
	v_and_b32_e32 v37, 3, v0
	ds_write2_b32 v19, v31, v18 offset1:2
	v_lshlrev_b32_e32 v18, 2, v37
	s_waitcnt lgkmcnt(0)
	; wave barrier
	s_waitcnt lgkmcnt(0)
	global_load_dword v57, v18, s[8:9] offset:8
	ds_read2_b32 v[18:19], v27 offset0:120 offset1:176
	s_movk_i32 s1, 0x78
	s_movk_i32 s2, 0x2f8
	s_waitcnt vmcnt(0) lgkmcnt(0)
	v_pk_mul_f16 v31, v57, v18 op_sel:[0,1]
	v_pk_fma_f16 v32, v57, v18, v31 op_sel:[0,0,1] op_sel_hi:[1,1,0]
	v_pk_fma_f16 v18, v57, v18, v31 op_sel:[0,0,1] op_sel_hi:[1,0,0] neg_lo:[1,0,0] neg_hi:[1,0,0]
	v_bfi_b32 v18, s0, v32, v18
	v_and_or_b32 v31, v51, s1, v37
	v_lshl_add_u32 v60, v31, 2, 0
	ds_read_b32 v31, v38
	ds_read_b32 v63, v21
	ds_read_b32 v64, v22
	ds_read_b32 v65, v28
	ds_read_b32 v66, v29
	ds_read_b32 v67, v38 offset:3808
	ds_read_b32 v68, v20
	ds_read_b32 v69, v26
	s_waitcnt lgkmcnt(7)
	v_pk_add_f16 v18, v31, v18 neg_lo:[0,1] neg_hi:[0,1]
	v_pk_fma_f16 v70, v31, 2.0, v18 op_sel_hi:[1,0,1] neg_lo:[0,0,1] neg_hi:[0,0,1]
	ds_read_b32 v71, v61
	ds_read_b32 v72, v62
	ds_read2_b32 v[31:32], v46 offset0:104 offset1:160
	ds_read2_b32 v[33:34], v30 offset0:88 offset1:144
	;; [unrolled: 1-line block ×3, first 2 shown]
	s_waitcnt lgkmcnt(0)
	; wave barrier
	s_waitcnt lgkmcnt(0)
	ds_write2_b32 v60, v70, v18 offset1:4
	v_pk_mul_f16 v18, v57, v19 op_sel:[0,1]
	v_pk_fma_f16 v60, v57, v19, v18 op_sel:[0,0,1] op_sel_hi:[1,1,0]
	v_pk_fma_f16 v18, v57, v19, v18 op_sel:[0,0,1] op_sel_hi:[1,0,0] neg_lo:[1,0,0] neg_hi:[1,0,0]
	v_bfi_b32 v18, s0, v60, v18
	s_movk_i32 s1, 0xf8
	v_and_or_b32 v19, v52, s1, v37
	v_pk_add_f16 v18, v69, v18 neg_lo:[0,1] neg_hi:[0,1]
	v_lshl_add_u32 v19, v19, 2, 0
	v_pk_fma_f16 v60, v69, 2.0, v18 op_sel_hi:[1,0,1] neg_lo:[0,0,1] neg_hi:[0,0,1]
	ds_write2_b32 v19, v60, v18 offset1:4
	v_pk_mul_f16 v18, v57, v31 op_sel:[0,1]
	v_pk_fma_f16 v19, v57, v31, v18 op_sel:[0,0,1] op_sel_hi:[1,1,0]
	v_pk_fma_f16 v18, v57, v31, v18 op_sel:[0,0,1] op_sel_hi:[1,0,0] neg_lo:[1,0,0] neg_hi:[1,0,0]
	v_bfi_b32 v18, s0, v19, v18
	s_movk_i32 s1, 0x1f8
	v_and_or_b32 v19, v59, s1, v37
	v_pk_add_f16 v18, v68, v18 neg_lo:[0,1] neg_hi:[0,1]
	v_lshl_add_u32 v19, v19, 2, 0
	v_pk_fma_f16 v31, v68, 2.0, v18 op_sel_hi:[1,0,1] neg_lo:[0,0,1] neg_hi:[0,0,1]
	ds_write2_b32 v19, v31, v18 offset1:4
	v_pk_mul_f16 v18, v57, v32 op_sel:[0,1]
	v_pk_fma_f16 v19, v57, v32, v18 op_sel:[0,0,1] op_sel_hi:[1,1,0]
	v_pk_fma_f16 v18, v57, v32, v18 op_sel:[0,0,1] op_sel_hi:[1,0,0] neg_lo:[1,0,0] neg_hi:[1,0,0]
	v_bfi_b32 v18, s0, v19, v18
	v_and_or_b32 v19, v58, s1, v37
	v_pk_add_f16 v18, v63, v18 neg_lo:[0,1] neg_hi:[0,1]
	v_lshl_add_u32 v19, v19, 2, 0
	v_pk_fma_f16 v31, v63, 2.0, v18 op_sel_hi:[1,0,1] neg_lo:[0,0,1] neg_hi:[0,0,1]
	ds_write2_b32 v19, v31, v18 offset1:4
	v_pk_mul_f16 v18, v57, v33 op_sel:[0,1]
	v_pk_fma_f16 v19, v57, v33, v18 op_sel:[0,0,1] op_sel_hi:[1,1,0]
	v_pk_fma_f16 v18, v57, v33, v18 op_sel:[0,0,1] op_sel_hi:[1,0,0] neg_lo:[1,0,0] neg_hi:[1,0,0]
	v_bfi_b32 v18, s0, v19, v18
	s_movk_i32 s1, 0x3f8
	v_and_or_b32 v19, v53, s1, v37
	v_pk_add_f16 v18, v64, v18 neg_lo:[0,1] neg_hi:[0,1]
	v_lshl_add_u32 v19, v19, 2, 0
	v_pk_fma_f16 v31, v64, 2.0, v18 op_sel_hi:[1,0,1] neg_lo:[0,0,1] neg_hi:[0,0,1]
	ds_write2_b32 v19, v31, v18 offset1:4
	v_pk_mul_f16 v18, v57, v34 op_sel:[0,1]
	v_pk_fma_f16 v19, v57, v34, v18 op_sel:[0,0,1] op_sel_hi:[1,1,0]
	v_pk_fma_f16 v18, v57, v34, v18 op_sel:[0,0,1] op_sel_hi:[1,0,0] neg_lo:[1,0,0] neg_hi:[1,0,0]
	v_bfi_b32 v18, s0, v19, v18
	v_and_or_b32 v19, v54, s2, v37
	v_pk_add_f16 v18, v65, v18 neg_lo:[0,1] neg_hi:[0,1]
	v_lshl_add_u32 v19, v19, 2, 0
	v_pk_fma_f16 v31, v65, 2.0, v18 op_sel_hi:[1,0,1] neg_lo:[0,0,1] neg_hi:[0,0,1]
	ds_write2_b32 v19, v31, v18 offset1:4
	v_pk_mul_f16 v18, v57, v35 op_sel:[0,1]
	v_pk_fma_f16 v19, v57, v35, v18 op_sel:[0,0,1] op_sel_hi:[1,1,0]
	v_pk_fma_f16 v18, v57, v35, v18 op_sel:[0,0,1] op_sel_hi:[1,0,0] neg_lo:[1,0,0] neg_hi:[1,0,0]
	v_bfi_b32 v18, s0, v19, v18
	v_and_or_b32 v19, v55, s1, v37
	v_pk_add_f16 v18, v66, v18 neg_lo:[0,1] neg_hi:[0,1]
	v_lshl_add_u32 v19, v19, 2, 0
	v_pk_fma_f16 v31, v66, 2.0, v18 op_sel_hi:[1,0,1] neg_lo:[0,0,1] neg_hi:[0,0,1]
	ds_write2_b32 v19, v31, v18 offset1:4
	v_pk_mul_f16 v18, v36, v57 op_sel:[0,1]
	v_pk_fma_f16 v19, v36, v57, v18 op_sel:[0,0,1] op_sel_hi:[1,1,0]
	v_pk_fma_f16 v18, v36, v57, v18 op_sel:[0,0,1] op_sel_hi:[1,0,0] neg_lo:[0,0,1] neg_hi:[0,0,1]
	v_bfi_b32 v18, s0, v19, v18
	v_and_or_b32 v19, v56, s1, v37
	v_pk_add_f16 v18, v71, v18 neg_lo:[0,1] neg_hi:[0,1]
	v_lshl_add_u32 v19, v19, 2, 0
	v_pk_fma_f16 v31, v71, 2.0, v18 op_sel_hi:[1,0,1] neg_lo:[0,0,1] neg_hi:[0,0,1]
	ds_write2_b32 v19, v31, v18 offset1:4
	v_pk_mul_f16 v18, v67, v57 op_sel:[0,1]
	v_pk_fma_f16 v19, v67, v57, v18 op_sel:[0,0,1] op_sel_hi:[1,1,0]
	v_pk_fma_f16 v18, v67, v57, v18 op_sel:[0,0,1] op_sel_hi:[1,0,0] neg_lo:[0,0,1] neg_hi:[0,0,1]
	v_bfi_b32 v18, s0, v19, v18
	v_and_or_b32 v19, v50, s1, v37
	v_pk_add_f16 v18, v72, v18 neg_lo:[0,1] neg_hi:[0,1]
	v_lshl_add_u32 v19, v19, 2, 0
	v_pk_fma_f16 v31, v72, 2.0, v18 op_sel_hi:[1,0,1] neg_lo:[0,0,1] neg_hi:[0,0,1]
	v_and_b32_e32 v37, 7, v0
	ds_write2_b32 v19, v31, v18 offset1:4
	v_lshlrev_b32_e32 v18, 2, v37
	s_waitcnt lgkmcnt(0)
	; wave barrier
	s_waitcnt lgkmcnt(0)
	global_load_dword v57, v18, s[8:9] offset:24
	ds_read2_b32 v[18:19], v27 offset0:120 offset1:176
	s_movk_i32 s1, 0x70
	ds_read_b32 v60, v61
	ds_read_b32 v61, v62
	s_movk_i32 s2, 0x2f0
	s_waitcnt vmcnt(0) lgkmcnt(2)
	v_pk_mul_f16 v31, v57, v18 op_sel:[0,1]
	v_pk_fma_f16 v32, v57, v18, v31 op_sel:[0,0,1] op_sel_hi:[1,1,0]
	v_pk_fma_f16 v18, v57, v18, v31 op_sel:[0,0,1] op_sel_hi:[1,0,0] neg_lo:[1,0,0] neg_hi:[1,0,0]
	v_bfi_b32 v18, s0, v32, v18
	v_and_or_b32 v31, v51, s1, v37
	v_lshl_add_u32 v51, v31, 2, 0
	ds_read_b32 v31, v38
	ds_read_b32 v62, v21
	;; [unrolled: 1-line block ×5, first 2 shown]
	ds_read_b32 v66, v38 offset:3808
	ds_read_b32 v67, v20
	ds_read_b32 v68, v26
	s_waitcnt lgkmcnt(7)
	v_pk_add_f16 v18, v31, v18 neg_lo:[0,1] neg_hi:[0,1]
	v_pk_fma_f16 v69, v31, 2.0, v18 op_sel_hi:[1,0,1] neg_lo:[0,0,1] neg_hi:[0,0,1]
	ds_read2_b32 v[31:32], v46 offset0:104 offset1:160
	ds_read2_b32 v[33:34], v30 offset0:88 offset1:144
	;; [unrolled: 1-line block ×3, first 2 shown]
	s_waitcnt lgkmcnt(0)
	; wave barrier
	s_waitcnt lgkmcnt(0)
	ds_write2_b32 v51, v69, v18 offset1:8
	v_pk_mul_f16 v18, v57, v19 op_sel:[0,1]
	v_pk_fma_f16 v51, v57, v19, v18 op_sel:[0,0,1] op_sel_hi:[1,1,0]
	v_pk_fma_f16 v18, v57, v19, v18 op_sel:[0,0,1] op_sel_hi:[1,0,0] neg_lo:[1,0,0] neg_hi:[1,0,0]
	v_bfi_b32 v18, s0, v51, v18
	s_movk_i32 s1, 0xf0
	v_and_or_b32 v19, v52, s1, v37
	v_pk_add_f16 v18, v68, v18 neg_lo:[0,1] neg_hi:[0,1]
	v_lshl_add_u32 v19, v19, 2, 0
	v_pk_fma_f16 v51, v68, 2.0, v18 op_sel_hi:[1,0,1] neg_lo:[0,0,1] neg_hi:[0,0,1]
	ds_write2_b32 v19, v51, v18 offset1:8
	v_pk_mul_f16 v18, v57, v31 op_sel:[0,1]
	v_pk_fma_f16 v19, v57, v31, v18 op_sel:[0,0,1] op_sel_hi:[1,1,0]
	v_pk_fma_f16 v18, v57, v31, v18 op_sel:[0,0,1] op_sel_hi:[1,0,0] neg_lo:[1,0,0] neg_hi:[1,0,0]
	v_bfi_b32 v18, s0, v19, v18
	s_movk_i32 s1, 0x1f0
	v_and_or_b32 v19, v59, s1, v37
	v_pk_add_f16 v18, v67, v18 neg_lo:[0,1] neg_hi:[0,1]
	v_lshl_add_u32 v19, v19, 2, 0
	v_pk_fma_f16 v31, v67, 2.0, v18 op_sel_hi:[1,0,1] neg_lo:[0,0,1] neg_hi:[0,0,1]
	ds_write2_b32 v19, v31, v18 offset1:8
	v_pk_mul_f16 v18, v57, v32 op_sel:[0,1]
	v_pk_fma_f16 v19, v57, v32, v18 op_sel:[0,0,1] op_sel_hi:[1,1,0]
	v_pk_fma_f16 v18, v57, v32, v18 op_sel:[0,0,1] op_sel_hi:[1,0,0] neg_lo:[1,0,0] neg_hi:[1,0,0]
	v_bfi_b32 v18, s0, v19, v18
	v_and_or_b32 v19, v58, s1, v37
	v_pk_add_f16 v18, v62, v18 neg_lo:[0,1] neg_hi:[0,1]
	v_lshl_add_u32 v19, v19, 2, 0
	v_pk_fma_f16 v31, v62, 2.0, v18 op_sel_hi:[1,0,1] neg_lo:[0,0,1] neg_hi:[0,0,1]
	ds_write2_b32 v19, v31, v18 offset1:8
	v_pk_mul_f16 v18, v57, v33 op_sel:[0,1]
	v_pk_fma_f16 v19, v57, v33, v18 op_sel:[0,0,1] op_sel_hi:[1,1,0]
	v_pk_fma_f16 v18, v57, v33, v18 op_sel:[0,0,1] op_sel_hi:[1,0,0] neg_lo:[1,0,0] neg_hi:[1,0,0]
	v_bfi_b32 v18, s0, v19, v18
	s_movk_i32 s1, 0x3f0
	v_and_or_b32 v19, v53, s1, v37
	v_pk_add_f16 v18, v63, v18 neg_lo:[0,1] neg_hi:[0,1]
	v_lshl_add_u32 v19, v19, 2, 0
	v_pk_fma_f16 v31, v63, 2.0, v18 op_sel_hi:[1,0,1] neg_lo:[0,0,1] neg_hi:[0,0,1]
	ds_write2_b32 v19, v31, v18 offset1:8
	v_pk_mul_f16 v18, v57, v34 op_sel:[0,1]
	v_pk_fma_f16 v19, v57, v34, v18 op_sel:[0,0,1] op_sel_hi:[1,1,0]
	v_pk_fma_f16 v18, v57, v34, v18 op_sel:[0,0,1] op_sel_hi:[1,0,0] neg_lo:[1,0,0] neg_hi:[1,0,0]
	v_bfi_b32 v18, s0, v19, v18
	v_and_or_b32 v19, v54, s2, v37
	v_pk_add_f16 v18, v64, v18 neg_lo:[0,1] neg_hi:[0,1]
	v_lshl_add_u32 v19, v19, 2, 0
	v_pk_fma_f16 v31, v64, 2.0, v18 op_sel_hi:[1,0,1] neg_lo:[0,0,1] neg_hi:[0,0,1]
	ds_write2_b32 v19, v31, v18 offset1:8
	v_pk_mul_f16 v18, v57, v35 op_sel:[0,1]
	v_pk_fma_f16 v19, v57, v35, v18 op_sel:[0,0,1] op_sel_hi:[1,1,0]
	v_pk_fma_f16 v18, v57, v35, v18 op_sel:[0,0,1] op_sel_hi:[1,0,0] neg_lo:[1,0,0] neg_hi:[1,0,0]
	v_bfi_b32 v18, s0, v19, v18
	;; [unrolled: 9-line block ×4, first 2 shown]
	v_and_or_b32 v31, v50, s1, v37
	v_pk_add_f16 v18, v61, v18 neg_lo:[0,1] neg_hi:[0,1]
	v_lshl_add_u32 v19, v31, 2, 0
	v_pk_fma_f16 v31, v61, 2.0, v18 op_sel_hi:[1,0,1] neg_lo:[0,0,1] neg_hi:[0,0,1]
	v_and_b32_e32 v37, 15, v2
	ds_write2_b32 v19, v31, v18 offset1:8
	v_lshlrev_b32_e32 v18, 3, v37
	s_waitcnt lgkmcnt(0)
	; wave barrier
	s_waitcnt lgkmcnt(0)
	global_load_dwordx2 v[31:32], v18, s[8:9] offset:56
	v_and_b32_e32 v58, 15, v0
	v_and_b32_e32 v19, 15, v6
	v_lshlrev_b32_e32 v50, 3, v58
	global_load_dwordx2 v[50:51], v50, s[8:9] offset:56
	v_lshlrev_b32_e32 v18, 3, v19
	global_load_dwordx2 v[33:34], v18, s[8:9] offset:56
	v_and_b32_e32 v18, 15, v10
	v_lshlrev_b32_e32 v35, 3, v18
	global_load_dwordx2 v[35:36], v35, s[8:9] offset:56
	ds_read2_b32 v[52:53], v15 offset0:136 offset1:192
	ds_read2_b32 v[54:55], v30 offset0:88 offset1:144
	s_mov_b32 s2, 0xbaee
	s_movk_i32 s0, 0xab
	s_waitcnt lgkmcnt(1)
	v_lshrrev_b32_e32 v56, 16, v52
	s_waitcnt vmcnt(3)
	v_mul_f16_sdwa v57, v31, v52 dst_sel:DWORD dst_unused:UNUSED_PAD src0_sel:WORD_1 src1_sel:DWORD
	v_fma_f16 v59, v31, v56, -v57
	v_mul_f16_sdwa v56, v31, v56 dst_sel:DWORD dst_unused:UNUSED_PAD src0_sel:WORD_1 src1_sel:DWORD
	v_fma_f16 v52, v31, v52, v56
	ds_read2_b32 v[56:57], v27 offset0:120 offset1:176
	s_waitcnt lgkmcnt(1)
	v_lshrrev_b32_e32 v31, 16, v54
	v_mul_f16_sdwa v60, v32, v54 dst_sel:DWORD dst_unused:UNUSED_PAD src0_sel:WORD_1 src1_sel:DWORD
	v_fma_f16 v60, v32, v31, -v60
	v_mul_f16_sdwa v31, v32, v31 dst_sel:DWORD dst_unused:UNUSED_PAD src0_sel:WORD_1 src1_sel:DWORD
	v_fma_f16 v54, v32, v54, v31
	s_waitcnt lgkmcnt(0)
	v_lshrrev_b32_e32 v61, 16, v56
	ds_read2_b32 v[31:32], v24 offset0:72 offset1:128
	s_waitcnt vmcnt(1)
	v_mul_f16_sdwa v62, v56, v33 dst_sel:DWORD dst_unused:UNUSED_PAD src0_sel:DWORD src1_sel:WORD_1
	v_fma_f16 v62, v61, v33, -v62
	v_mul_f16_sdwa v61, v61, v33 dst_sel:DWORD dst_unused:UNUSED_PAD src0_sel:DWORD src1_sel:WORD_1
	v_fma_f16 v33, v56, v33, v61
	ds_read_b32 v61, v29
	s_waitcnt lgkmcnt(1)
	v_lshrrev_b32_e32 v56, 16, v31
	v_mul_f16_sdwa v63, v31, v34 dst_sel:DWORD dst_unused:UNUSED_PAD src0_sel:DWORD src1_sel:WORD_1
	v_fma_f16 v63, v56, v34, -v63
	v_mul_f16_sdwa v56, v56, v34 dst_sel:DWORD dst_unused:UNUSED_PAD src0_sel:DWORD src1_sel:WORD_1
	v_fma_f16 v34, v31, v34, v56
	s_waitcnt lgkmcnt(0)
	v_lshrrev_b32_e32 v31, 16, v61
	v_mul_f16_sdwa v56, v50, v31 dst_sel:DWORD dst_unused:UNUSED_PAD src0_sel:WORD_1 src1_sel:DWORD
	v_fma_f16 v56, v50, v61, v56
	v_mul_f16_sdwa v61, v50, v61 dst_sel:DWORD dst_unused:UNUSED_PAD src0_sel:WORD_1 src1_sel:DWORD
	v_fma_f16 v61, v50, v31, -v61
	ds_read_u16 v31, v38 offset:1794
	ds_read_b32 v64, v21
	ds_read_b32 v65, v22
	;; [unrolled: 1-line block ×3, first 2 shown]
	ds_read_b32 v67, v38 offset:3808
	ds_read_b32 v68, v26
	ds_read_b32 v69, v38
	s_waitcnt lgkmcnt(6)
	v_mul_f16_sdwa v70, v31, v50 dst_sel:DWORD dst_unused:UNUSED_PAD src0_sel:DWORD src1_sel:WORD_1
	v_fma_f16 v70, v50, v53, v70
	v_mul_f16_sdwa v53, v50, v53 dst_sel:DWORD dst_unused:UNUSED_PAD src0_sel:WORD_1 src1_sel:DWORD
	v_fma_f16 v53, v31, v50, -v53
	v_lshrrev_b32_e32 v31, 16, v55
	v_mul_f16_sdwa v71, v31, v51 dst_sel:DWORD dst_unused:UNUSED_PAD src0_sel:DWORD src1_sel:WORD_1
	v_fma_f16 v71, v55, v51, v71
	v_mul_f16_sdwa v55, v55, v51 dst_sel:DWORD dst_unused:UNUSED_PAD src0_sel:DWORD src1_sel:WORD_1
	v_fma_f16 v55, v31, v51, -v55
	v_lshrrev_b32_e32 v31, 16, v57
	v_mul_f16_sdwa v72, v31, v50 dst_sel:DWORD dst_unused:UNUSED_PAD src0_sel:DWORD src1_sel:WORD_1
	v_fma_f16 v72, v57, v50, v72
	v_mul_f16_sdwa v57, v57, v50 dst_sel:DWORD dst_unused:UNUSED_PAD src0_sel:DWORD src1_sel:WORD_1
	;; [unrolled: 5-line block ×3, first 2 shown]
	v_fma_f16 v73, v31, v51, -v32
	ds_read2_b32 v[31:32], v46 offset0:104 offset1:160
	s_waitcnt lgkmcnt(0)
	v_lshrrev_b32_e32 v74, 16, v32
	v_mul_f16_sdwa v75, v51, v32 dst_sel:DWORD dst_unused:UNUSED_PAD src0_sel:WORD_1 src1_sel:DWORD
	v_fma_f16 v75, v51, v74, -v75
	v_mul_f16_sdwa v74, v51, v74 dst_sel:DWORD dst_unused:UNUSED_PAD src0_sel:WORD_1 src1_sel:DWORD
	v_fma_f16 v32, v51, v32, v74
	v_lshrrev_b32_e32 v51, 16, v31
	s_waitcnt vmcnt(0)
	v_mul_f16_sdwa v74, v51, v35 dst_sel:DWORD dst_unused:UNUSED_PAD src0_sel:DWORD src1_sel:WORD_1
	v_fma_f16 v74, v31, v35, v74
	v_mul_f16_sdwa v31, v31, v35 dst_sel:DWORD dst_unused:UNUSED_PAD src0_sel:DWORD src1_sel:WORD_1
	v_fma_f16 v31, v51, v35, -v31
	v_lshrrev_b32_e32 v35, 16, v67
	v_mul_f16_sdwa v51, v35, v36 dst_sel:DWORD dst_unused:UNUSED_PAD src0_sel:DWORD src1_sel:WORD_1
	v_fma_f16 v51, v67, v36, v51
	v_mul_f16_sdwa v67, v67, v36 dst_sel:DWORD dst_unused:UNUSED_PAD src0_sel:DWORD src1_sel:WORD_1
	v_fma_f16 v35, v35, v36, -v67
	v_lshrrev_b32_e32 v36, 16, v69
	v_add_f16_e32 v67, v36, v61
	v_sub_f16_e32 v76, v61, v75
	v_add_f16_e32 v61, v61, v75
	v_fma_f16 v36, v61, -0.5, v36
	v_add_f16_e32 v61, v56, v32
	v_add_f16_e32 v67, v67, v75
	v_fma_f16 v61, v61, -0.5, v69
	v_add_f16_e32 v69, v69, v56
	v_lshrrev_b32_e32 v75, 4, v0
	v_add_f16_e32 v69, v69, v32
	v_sub_f16_e32 v32, v56, v32
	v_mul_u32_u24_e32 v75, 48, v75
	v_pack_b32_f16 v56, v69, v67
	v_fma_f16 v67, v76, s2, v61
	v_fma_f16 v69, v32, s3, v36
	v_or_b32_e32 v75, v75, v58
	v_pack_b32_f16 v67, v67, v69
	v_lshl_add_u32 v75, v75, 2, 0
	ds_read_b32 v69, v20
	s_waitcnt lgkmcnt(0)
	; wave barrier
	s_waitcnt lgkmcnt(0)
	ds_write2_b32 v75, v56, v67 offset1:16
	v_fma_f16 v56, v76, s3, v61
	v_fma_f16 v32, v32, s2, v36
	v_pack_b32_f16 v32, v56, v32
	ds_write_b32 v75, v32 offset:128
	v_lshrrev_b32_e32 v32, 16, v68
	v_add_f16_e32 v36, v32, v59
	v_add_f16_e32 v36, v36, v60
	v_sub_f16_e32 v56, v59, v60
	v_add_f16_e32 v59, v59, v60
	v_lshrrev_b32_e32 v60, 4, v2
	v_mul_lo_u32 v60, v60, 48
	v_fma_f16 v32, v59, -0.5, v32
	v_add_f16_e32 v59, v52, v54
	v_fma_f16 v59, v59, -0.5, v68
	v_add_f16_e32 v61, v68, v52
	v_sub_f16_e32 v52, v52, v54
	v_add_f16_e32 v61, v61, v54
	v_or_b32_e32 v37, v60, v37
	v_fma_f16 v54, v56, s2, v59
	v_fma_f16 v60, v52, s3, v32
	v_pack_b32_f16 v36, v61, v36
	v_pack_b32_f16 v54, v54, v60
	v_lshl_add_u32 v37, v37, 2, 0
	ds_write2_b32 v37, v36, v54 offset1:16
	v_fma_f16 v36, v56, s3, v59
	v_fma_f16 v32, v52, s2, v32
	v_pack_b32_f16 v32, v36, v32
	ds_write_b32 v37, v32 offset:128
	v_lshrrev_b32_e32 v32, 16, v69
	v_add_f16_e32 v36, v32, v53
	v_sub_f16_e32 v37, v53, v55
	v_add_f16_e32 v52, v53, v55
	v_add_f16_e32 v53, v69, v70
	v_add_f16_e32 v36, v36, v55
	v_add_f16_e32 v53, v53, v71
	v_pack_b32_f16 v36, v53, v36
	v_lshrrev_b32_e32 v53, 4, v17
	v_mul_lo_u32 v53, v53, 48
	v_fma_f16 v32, v52, -0.5, v32
	v_add_f16_e32 v52, v70, v71
	v_fma_f16 v52, v52, -0.5, v69
	v_sub_f16_e32 v54, v70, v71
	v_fma_f16 v55, v37, s2, v52
	v_fma_f16 v56, v54, s3, v32
	v_or_b32_e32 v53, v53, v58
	v_pack_b32_f16 v55, v55, v56
	v_lshl_add_u32 v53, v53, 2, 0
	ds_write2_b32 v53, v36, v55 offset1:16
	v_fma_f16 v36, v37, s3, v52
	v_fma_f16 v32, v54, s2, v32
	v_pack_b32_f16 v32, v36, v32
	ds_write_b32 v53, v32 offset:128
	v_lshrrev_b32_e32 v53, 4, v6
	v_mul_lo_u32 v53, v53, 48
	v_lshrrev_b32_e32 v32, 16, v64
	v_add_f16_e32 v52, v62, v63
	v_add_f16_e32 v36, v32, v62
	v_fma_f16 v32, v52, -0.5, v32
	v_add_f16_e32 v52, v33, v34
	v_add_f16_e32 v54, v64, v33
	;; [unrolled: 1-line block ×3, first 2 shown]
	v_sub_f16_e32 v37, v62, v63
	v_fma_f16 v52, v52, -0.5, v64
	v_add_f16_e32 v54, v54, v34
	v_sub_f16_e32 v33, v33, v34
	v_or_b32_e32 v19, v53, v19
	v_pack_b32_f16 v34, v54, v36
	v_fma_f16 v36, v37, s2, v52
	v_fma_f16 v53, v33, s3, v32
	v_pack_b32_f16 v36, v36, v53
	v_lshl_add_u32 v19, v19, 2, 0
	ds_write2_b32 v19, v34, v36 offset1:16
	v_fma_f16 v34, v37, s3, v52
	v_fma_f16 v32, v33, s2, v32
	v_lshrrev_b32_e32 v36, 4, v8
	v_pack_b32_f16 v32, v34, v32
	v_mul_lo_u32 v36, v36, 48
	ds_write_b32 v19, v32 offset:128
	v_lshrrev_b32_e32 v19, 16, v65
	v_add_f16_e32 v34, v50, v73
	v_add_f16_e32 v32, v19, v50
	v_fma_f16 v19, v34, -0.5, v19
	v_add_f16_e32 v34, v72, v57
	v_add_f16_e32 v37, v65, v72
	;; [unrolled: 1-line block ×3, first 2 shown]
	v_sub_f16_e32 v33, v50, v73
	v_fma_f16 v34, v34, -0.5, v65
	v_add_f16_e32 v37, v37, v57
	v_sub_f16_e32 v50, v72, v57
	v_or_b32_e32 v36, v36, v58
	v_pack_b32_f16 v32, v37, v32
	v_fma_f16 v37, v33, s2, v34
	v_fma_f16 v52, v50, s3, v19
	v_pack_b32_f16 v37, v37, v52
	v_lshl_add_u32 v36, v36, 2, 0
	ds_write2_b32 v36, v32, v37 offset1:16
	v_fma_f16 v32, v33, s3, v34
	v_fma_f16 v19, v50, s2, v19
	v_pack_b32_f16 v19, v32, v19
	v_lshrrev_b32_e32 v34, 4, v10
	ds_write_b32 v36, v19 offset:128
	v_lshrrev_b32_e32 v19, 16, v66
	v_mul_lo_u32 v34, v34, 48
	v_add_f16_e32 v32, v19, v31
	v_sub_f16_e32 v33, v31, v35
	v_add_f16_e32 v31, v31, v35
	v_add_f16_e32 v32, v32, v35
	v_fma_f16 v19, v31, -0.5, v19
	v_add_f16_e32 v31, v74, v51
	v_add_f16_e32 v35, v66, v74
	v_fma_f16 v31, v31, -0.5, v66
	v_add_f16_e32 v35, v35, v51
	v_sub_f16_e32 v36, v74, v51
	v_or_b32_e32 v18, v34, v18
	v_pack_b32_f16 v32, v35, v32
	v_fma_f16 v34, v33, s2, v31
	v_fma_f16 v35, v36, s3, v19
	;; [unrolled: 1-line block ×4, first 2 shown]
	v_pack_b32_f16 v34, v34, v35
	v_lshl_add_u32 v18, v18, 2, 0
	v_pack_b32_f16 v19, v31, v19
	ds_write2_b32 v18, v32, v34 offset1:16
	ds_write_b32 v18, v19 offset:128
	v_mul_lo_u16_sdwa v18, v2, s0 dst_sel:DWORD dst_unused:UNUSED_PAD src0_sel:BYTE_0 src1_sel:DWORD
	v_lshrrev_b16_e32 v37, 13, v18
	v_mul_lo_u16_e32 v18, 48, v37
	v_sub_u16_e32 v56, v2, v18
	v_mov_b32_e32 v18, 3
	v_lshlrev_b32_sdwa v19, v18, v56 dst_sel:DWORD dst_unused:UNUSED_PAD src0_sel:DWORD src1_sel:BYTE_0
	s_waitcnt lgkmcnt(0)
	; wave barrier
	s_waitcnt lgkmcnt(0)
	global_load_dwordx2 v[31:32], v19, s[8:9] offset:184
	v_mul_lo_u16_sdwa v19, v17, s0 dst_sel:DWORD dst_unused:UNUSED_PAD src0_sel:BYTE_0 src1_sel:DWORD
	v_lshrrev_b16_e32 v57, 13, v19
	v_mul_lo_u16_e32 v19, 48, v57
	v_sub_u16_e32 v58, v17, v19
	v_lshlrev_b32_sdwa v19, v18, v58 dst_sel:DWORD dst_unused:UNUSED_PAD src0_sel:DWORD src1_sel:BYTE_0
	global_load_dwordx2 v[33:34], v19, s[8:9] offset:184
	v_mul_lo_u16_sdwa v19, v6, s0 dst_sel:DWORD dst_unused:UNUSED_PAD src0_sel:BYTE_0 src1_sel:DWORD
	v_lshrrev_b16_e32 v59, 13, v19
	v_mul_lo_u16_e32 v19, 48, v59
	v_sub_u16_e32 v60, v6, v19
	v_lshlrev_b32_sdwa v18, v18, v60 dst_sel:DWORD dst_unused:UNUSED_PAD src0_sel:DWORD src1_sel:BYTE_0
	global_load_dwordx2 v[35:36], v18, s[8:9] offset:184
	v_subrev_u32_e32 v18, 48, v0
	v_cmp_gt_u32_e64 s[0:1], 48, v0
	v_cndmask_b32_e64 v61, v18, v0, s[0:1]
	v_lshlrev_b32_e32 v18, 1, v61
	v_mov_b32_e32 v19, 0
	v_lshlrev_b64 v[50:51], 2, v[18:19]
	ds_read2_b32 v[52:53], v15 offset0:136 offset1:192
	v_mov_b32_e32 v54, s9
	v_add_co_u32_e64 v50, s[0:1], s8, v50
	v_addc_co_u32_e64 v51, s[0:1], v54, v51, s[0:1]
	ds_read2_b32 v[54:55], v30 offset0:88 offset1:144
	s_waitcnt lgkmcnt(1)
	v_lshrrev_b32_e32 v18, 16, v52
	s_mov_b32 s0, 0xaaab
	global_load_dwordx2 v[50:51], v[50:51], off offset:184
	v_lshlrev_b32_e32 v61, 2, v61
	v_mul_u32_u24_e32 v37, 0x240, v37
	s_waitcnt vmcnt(3)
	v_mul_f16_sdwa v30, v31, v52 dst_sel:DWORD dst_unused:UNUSED_PAD src0_sel:WORD_1 src1_sel:DWORD
	v_fma_f16 v62, v31, v18, -v30
	v_mul_f16_sdwa v18, v31, v18 dst_sel:DWORD dst_unused:UNUSED_PAD src0_sel:WORD_1 src1_sel:DWORD
	v_fma_f16 v18, v31, v52, v18
	s_waitcnt lgkmcnt(0)
	v_lshrrev_b32_e32 v52, 16, v54
	v_mul_f16_sdwa v30, v32, v54 dst_sel:DWORD dst_unused:UNUSED_PAD src0_sel:WORD_1 src1_sel:DWORD
	v_fma_f16 v63, v32, v52, -v30
	v_mul_u32_u24_sdwa v30, v8, s0 dst_sel:DWORD dst_unused:UNUSED_PAD src0_sel:WORD_0 src1_sel:DWORD
	v_lshrrev_b32_e32 v64, 21, v30
	v_mul_lo_u16_e32 v30, 48, v64
	v_sub_u16_e32 v65, v8, v30
	v_lshlrev_b32_e32 v30, 3, v65
	global_load_dwordx2 v[30:31], v30, s[8:9] offset:184
	v_mul_f16_sdwa v52, v32, v52 dst_sel:DWORD dst_unused:UNUSED_PAD src0_sel:WORD_1 src1_sel:DWORD
	v_fma_f16 v54, v32, v54, v52
	v_lshrrev_b32_e32 v32, 16, v53
	s_waitcnt vmcnt(3)
	v_mul_f16_sdwa v52, v32, v33 dst_sel:DWORD dst_unused:UNUSED_PAD src0_sel:DWORD src1_sel:WORD_1
	v_fma_f16 v66, v53, v33, v52
	v_mul_f16_sdwa v52, v53, v33 dst_sel:DWORD dst_unused:UNUSED_PAD src0_sel:DWORD src1_sel:WORD_1
	v_fma_f16 v67, v32, v33, -v52
	v_lshrrev_b32_e32 v52, 16, v55
	ds_read2_b32 v[32:33], v27 offset0:120 offset1:176
	v_mul_f16_sdwa v53, v52, v34 dst_sel:DWORD dst_unused:UNUSED_PAD src0_sel:DWORD src1_sel:WORD_1
	v_fma_f16 v68, v55, v34, v53
	v_mul_f16_sdwa v53, v55, v34 dst_sel:DWORD dst_unused:UNUSED_PAD src0_sel:DWORD src1_sel:WORD_1
	v_fma_f16 v55, v52, v34, -v53
	ds_read2_b32 v[52:53], v24 offset0:72 offset1:128
	s_waitcnt lgkmcnt(1)
	v_lshrrev_b32_e32 v34, 16, v32
	s_waitcnt vmcnt(2)
	v_mul_f16_sdwa v69, v32, v35 dst_sel:DWORD dst_unused:UNUSED_PAD src0_sel:DWORD src1_sel:WORD_1
	v_fma_f16 v69, v34, v35, -v69
	v_mul_f16_sdwa v34, v34, v35 dst_sel:DWORD dst_unused:UNUSED_PAD src0_sel:DWORD src1_sel:WORD_1
	v_fma_f16 v32, v32, v35, v34
	s_waitcnt lgkmcnt(0)
	v_lshrrev_b32_e32 v34, 16, v52
	v_mul_f16_sdwa v35, v52, v36 dst_sel:DWORD dst_unused:UNUSED_PAD src0_sel:DWORD src1_sel:WORD_1
	v_fma_f16 v70, v34, v36, -v35
	v_mul_f16_sdwa v34, v34, v36 dst_sel:DWORD dst_unused:UNUSED_PAD src0_sel:DWORD src1_sel:WORD_1
	v_fma_f16 v36, v52, v36, v34
	v_mul_u32_u24_sdwa v34, v10, s0 dst_sel:DWORD dst_unused:UNUSED_PAD src0_sel:WORD_0 src1_sel:DWORD
	v_lshrrev_b32_e32 v71, 21, v34
	v_mul_lo_u16_e32 v34, 48, v71
	v_sub_u16_e32 v72, v10, v34
	v_lshlrev_b32_e32 v34, 3, v72
	global_load_dwordx2 v[34:35], v34, s[8:9] offset:184
	v_lshrrev_b32_e32 v52, 16, v33
	v_cmp_lt_u32_e64 s[0:1], 47, v0
	s_waitcnt vmcnt(1)
	v_mul_f16_sdwa v73, v52, v30 dst_sel:DWORD dst_unused:UNUSED_PAD src0_sel:DWORD src1_sel:WORD_1
	v_fma_f16 v73, v33, v30, v73
	v_mul_f16_sdwa v33, v33, v30 dst_sel:DWORD dst_unused:UNUSED_PAD src0_sel:DWORD src1_sel:WORD_1
	v_fma_f16 v30, v52, v30, -v33
	v_lshrrev_b32_e32 v33, 16, v53
	v_mul_f16_sdwa v52, v33, v31 dst_sel:DWORD dst_unused:UNUSED_PAD src0_sel:DWORD src1_sel:WORD_1
	v_fma_f16 v52, v53, v31, v52
	v_mul_f16_sdwa v53, v53, v31 dst_sel:DWORD dst_unused:UNUSED_PAD src0_sel:DWORD src1_sel:WORD_1
	v_fma_f16 v31, v33, v31, -v53
	ds_read_b32 v29, v29
	ds_read_b32 v33, v28
	s_waitcnt lgkmcnt(1)
	v_lshrrev_b32_e32 v28, 16, v29
	v_mul_f16_sdwa v53, v50, v28 dst_sel:DWORD dst_unused:UNUSED_PAD src0_sel:WORD_1 src1_sel:DWORD
	v_fma_f16 v53, v50, v29, v53
	v_mul_f16_sdwa v29, v50, v29 dst_sel:DWORD dst_unused:UNUSED_PAD src0_sel:WORD_1 src1_sel:DWORD
	v_fma_f16 v50, v50, v28, -v29
	ds_read2_b32 v[28:29], v46 offset0:104 offset1:160
	s_waitcnt lgkmcnt(0)
	v_lshrrev_b32_e32 v74, 16, v29
	v_mul_f16_sdwa v75, v51, v29 dst_sel:DWORD dst_unused:UNUSED_PAD src0_sel:WORD_1 src1_sel:DWORD
	v_fma_f16 v75, v51, v74, -v75
	v_mul_f16_sdwa v74, v51, v74 dst_sel:DWORD dst_unused:UNUSED_PAD src0_sel:WORD_1 src1_sel:DWORD
	v_fma_f16 v29, v51, v29, v74
	v_lshrrev_b32_e32 v51, 16, v28
	v_sub_f16_e32 v79, v50, v75
	s_waitcnt vmcnt(0)
	v_mul_f16_sdwa v74, v51, v34 dst_sel:DWORD dst_unused:UNUSED_PAD src0_sel:DWORD src1_sel:WORD_1
	v_fma_f16 v74, v28, v34, v74
	v_mul_f16_sdwa v28, v28, v34 dst_sel:DWORD dst_unused:UNUSED_PAD src0_sel:DWORD src1_sel:WORD_1
	v_fma_f16 v28, v51, v34, -v28
	ds_read_b32 v21, v21
	ds_read_b32 v22, v22
	ds_read_b32 v34, v38 offset:3808
	ds_read_b32 v51, v26
	ds_read_b32 v76, v38
	;; [unrolled: 1-line block ×3, first 2 shown]
	s_waitcnt lgkmcnt(0)
	v_lshrrev_b32_e32 v77, 16, v34
	v_mul_f16_sdwa v78, v77, v35 dst_sel:DWORD dst_unused:UNUSED_PAD src0_sel:DWORD src1_sel:WORD_1
	v_fma_f16 v78, v34, v35, v78
	v_mul_f16_sdwa v34, v34, v35 dst_sel:DWORD dst_unused:UNUSED_PAD src0_sel:DWORD src1_sel:WORD_1
	v_fma_f16 v34, v77, v35, -v34
	v_lshrrev_b32_e32 v35, 16, v76
	v_add_f16_e32 v77, v35, v50
	v_add_f16_e32 v77, v77, v75
	;; [unrolled: 1-line block ×4, first 2 shown]
	v_fma_f16 v35, v50, -0.5, v35
	v_add_f16_e32 v50, v53, v29
	v_add_f16_e32 v75, v75, v29
	v_sub_f16_e32 v29, v53, v29
	v_mov_b32_e32 v53, 0x240
	v_fma_f16 v50, v50, -0.5, v76
	v_cndmask_b32_e64 v53, 0, v53, s[0:1]
	v_add3_u32 v53, 0, v53, v61
	v_pack_b32_f16 v61, v75, v77
	v_fma_f16 v75, v79, s2, v50
	v_fma_f16 v76, v29, s3, v35
	;; [unrolled: 1-line block ×4, first 2 shown]
	v_pack_b32_f16 v75, v75, v76
	v_pack_b32_f16 v29, v50, v29
	; wave barrier
	ds_write2_b32 v53, v61, v75 offset1:48
	ds_write_b32 v53, v29 offset:384
	v_lshrrev_b32_e32 v29, 16, v51
	v_add_f16_e32 v53, v62, v63
	v_add_f16_e32 v35, v29, v62
	v_fma_f16 v29, v53, -0.5, v29
	v_add_f16_e32 v53, v18, v54
	v_fma_f16 v53, v53, -0.5, v51
	v_add_f16_e32 v51, v51, v18
	v_add_f16_e32 v51, v51, v54
	v_sub_f16_e32 v18, v18, v54
	v_mov_b32_e32 v54, 2
	v_add_f16_e32 v35, v35, v63
	v_sub_f16_e32 v50, v62, v63
	v_lshlrev_b32_sdwa v56, v54, v56 dst_sel:DWORD dst_unused:UNUSED_PAD src0_sel:DWORD src1_sel:BYTE_0
	v_add3_u32 v37, 0, v37, v56
	v_pack_b32_f16 v35, v51, v35
	v_fma_f16 v51, v50, s2, v53
	v_fma_f16 v56, v18, s3, v29
	v_pack_b32_f16 v51, v51, v56
	ds_write2_b32 v37, v35, v51 offset1:48
	v_fma_f16 v35, v50, s3, v53
	v_fma_f16 v18, v18, s2, v29
	v_pack_b32_f16 v18, v35, v18
	ds_write_b32 v37, v18 offset:384
	v_lshrrev_b32_e32 v18, 16, v20
	v_add_f16_e32 v37, v67, v55
	v_add_f16_e32 v29, v18, v67
	v_fma_f16 v18, v37, -0.5, v18
	v_add_f16_e32 v37, v66, v68
	v_fma_f16 v37, v37, -0.5, v20
	v_add_f16_e32 v20, v20, v66
	v_add_f16_e32 v29, v29, v55
	v_sub_f16_e32 v35, v67, v55
	v_add_f16_e32 v20, v20, v68
	v_sub_f16_e32 v50, v66, v68
	v_mul_u32_u24_e32 v51, 0x240, v57
	v_lshlrev_b32_sdwa v53, v54, v58 dst_sel:DWORD dst_unused:UNUSED_PAD src0_sel:DWORD src1_sel:BYTE_0
	v_add3_u32 v51, 0, v51, v53
	v_pack_b32_f16 v20, v20, v29
	v_fma_f16 v29, v35, s2, v37
	v_fma_f16 v53, v50, s3, v18
	v_pack_b32_f16 v29, v29, v53
	ds_write2_b32 v51, v20, v29 offset1:48
	v_fma_f16 v20, v35, s3, v37
	v_fma_f16 v18, v50, s2, v18
	v_pack_b32_f16 v18, v20, v18
	ds_write_b32 v51, v18 offset:384
	v_lshrrev_b32_e32 v18, 16, v21
	v_add_f16_e32 v35, v69, v70
	v_add_f16_e32 v20, v18, v69
	v_fma_f16 v18, v35, -0.5, v18
	v_add_f16_e32 v35, v32, v36
	v_fma_f16 v35, v35, -0.5, v21
	v_add_f16_e32 v21, v21, v32
	v_add_f16_e32 v20, v20, v70
	v_sub_f16_e32 v29, v69, v70
	v_add_f16_e32 v21, v21, v36
	v_sub_f16_e32 v32, v32, v36
	v_lshlrev_b32_sdwa v36, v54, v60 dst_sel:DWORD dst_unused:UNUSED_PAD src0_sel:DWORD src1_sel:BYTE_0
	v_mul_u32_u24_e32 v37, 0x240, v59
	v_add3_u32 v36, 0, v37, v36
	v_pack_b32_f16 v20, v21, v20
	v_fma_f16 v21, v29, s2, v35
	v_fma_f16 v37, v32, s3, v18
	v_pack_b32_f16 v21, v21, v37
	ds_write2_b32 v36, v20, v21 offset1:48
	v_fma_f16 v20, v29, s3, v35
	v_fma_f16 v18, v32, s2, v18
	v_pack_b32_f16 v18, v20, v18
	ds_write_b32 v36, v18 offset:384
	v_lshrrev_b32_e32 v18, 16, v22
	v_add_f16_e32 v29, v30, v31
	v_add_f16_e32 v20, v18, v30
	v_fma_f16 v18, v29, -0.5, v18
	v_add_f16_e32 v29, v73, v52
	v_sub_f16_e32 v21, v30, v31
	v_fma_f16 v29, v29, -0.5, v22
	v_add_f16_e32 v22, v22, v73
	v_sub_f16_e32 v30, v73, v52
	v_add_f16_e32 v20, v20, v31
	v_add_f16_e32 v22, v22, v52
	v_mul_u32_u24_e32 v31, 0x240, v64
	v_lshlrev_b32_e32 v32, 2, v65
	v_fma_f16 v50, v21, s3, v29
	v_fma_f16 v51, v30, s2, v18
	v_add3_u32 v31, 0, v31, v32
	v_pack_b32_f16 v20, v22, v20
	v_fma_f16 v22, v21, s2, v29
	v_fma_f16 v32, v30, s3, v18
	v_pack_b32_f16 v18, v50, v51
	v_pack_b32_f16 v22, v22, v32
	ds_write_b32 v31, v18 offset:384
	v_lshrrev_b32_e32 v18, 16, v33
	ds_write2_b32 v31, v20, v22 offset1:48
	v_add_f16_e32 v20, v18, v28
	v_add_f16_e32 v52, v20, v34
	v_add_f16_e32 v20, v28, v34
	v_fma_f16 v18, v20, -0.5, v18
	v_mul_u32_u24_e32 v20, 0x240, v71
	v_lshlrev_b32_e32 v21, 2, v72
	v_sub_f16_e32 v22, v28, v34
	v_add3_u32 v28, 0, v20, v21
	v_add_f16_e32 v20, v74, v78
	v_fma_f16 v29, v20, -0.5, v33
	v_add_f16_e32 v20, v33, v74
	v_sub_f16_e32 v30, v74, v78
	v_add_f16_e32 v20, v20, v78
	v_fma_f16 v21, v22, s2, v29
	v_fma_f16 v53, v30, s3, v18
	;; [unrolled: 1-line block ×4, first 2 shown]
	v_pack_b32_f16 v31, v20, v52
	v_pack_b32_f16 v32, v21, v53
	;; [unrolled: 1-line block ×3, first 2 shown]
	ds_write2_b32 v28, v31, v32 offset1:48
	ds_write_b32 v28, v18 offset:384
	s_waitcnt lgkmcnt(0)
	; wave barrier
	s_waitcnt lgkmcnt(0)
	ds_read2_b32 v[32:33], v23 offset0:72 offset1:160
	ds_read2_b32 v[30:31], v27 offset0:104 offset1:192
	ds_read_b32 v58, v26
	ds_read_b32 v59, v38 offset:3680
	ds_read2_b32 v[26:27], v38 offset1:144
	ds_read2_b32 v[36:37], v15 offset0:88 offset1:176
	ds_read2_b32 v[34:35], v46 offset0:120 offset1:208
	;; [unrolled: 1-line block ×3, first 2 shown]
	v_sub_u32_e32 v18, 0, v48
	v_add_u32_e32 v48, v25, v18
	v_sub_u32_e32 v57, 0, v49
	v_cmp_gt_u32_e64 s[0:1], 32, v0
                                        ; implicit-def: $vgpr49
                                        ; implicit-def: $vgpr56
                                        ; implicit-def: $vgpr55
                                        ; implicit-def: $vgpr25
	s_and_saveexec_b64 s[2:3], s[0:1]
	s_cbranch_execz .LBB0_15
; %bb.14:
	ds_read_b32 v50, v48
	ds_read2_b32 v[20:21], v15 offset1:144
	ds_read2_b32 v[22:23], v46 offset0:32 offset1:176
	ds_read2_b32 v[24:25], v24 offset0:64 offset1:208
	s_waitcnt lgkmcnt(3)
	v_lshrrev_b32_e32 v51, 16, v50
	s_waitcnt lgkmcnt(2)
	v_lshrrev_b32_e32 v52, 16, v20
	v_lshrrev_b32_e32 v53, 16, v21
	s_waitcnt lgkmcnt(1)
	v_lshrrev_b32_e32 v54, 16, v22
	;; [unrolled: 3-line block ×3, first 2 shown]
	v_lshrrev_b32_e32 v56, 16, v25
.LBB0_15:
	s_or_b64 exec, exec, s[2:3]
	v_mul_u32_u24_e32 v60, 6, v0
	v_lshlrev_b32_e32 v75, 2, v60
	global_load_dwordx4 v[60:63], v75, s[8:9] offset:568
	s_waitcnt lgkmcnt(3)
	v_lshrrev_b32_e32 v74, 16, v27
	v_lshrrev_b32_e32 v73, 16, v33
	s_waitcnt lgkmcnt(2)
	v_lshrrev_b32_e32 v72, 16, v37
	v_lshrrev_b32_e32 v71, 16, v31
	s_waitcnt lgkmcnt(1)
	v_lshrrev_b32_e32 v70, 16, v35
	s_waitcnt lgkmcnt(0)
	v_lshrrev_b32_e32 v18, 16, v29
	v_lshrrev_b32_e32 v69, 16, v32
	;; [unrolled: 1-line block ×7, first 2 shown]
	s_movk_i32 s6, 0x2b26
	s_mov_b32 s4, 0xbb00
	s_mov_b32 s7, 0xbcab
	s_movk_i32 s5, 0x39e0
	s_mov_b32 s14, 0xb9e0
	s_mov_b32 s15, 0xb574
	s_movk_i32 s10, 0x3574
	s_mov_b32 s11, 0xb70e
	s_waitcnt vmcnt(0)
	v_mul_f16_sdwa v76, v60, v74 dst_sel:DWORD dst_unused:UNUSED_PAD src0_sel:WORD_1 src1_sel:DWORD
	v_fma_f16 v76, v60, v27, v76
	v_mul_f16_sdwa v27, v60, v27 dst_sel:DWORD dst_unused:UNUSED_PAD src0_sel:WORD_1 src1_sel:DWORD
	v_fma_f16 v27, v60, v74, -v27
	v_mul_f16_sdwa v60, v61, v73 dst_sel:DWORD dst_unused:UNUSED_PAD src0_sel:WORD_1 src1_sel:DWORD
	v_fma_f16 v74, v61, v33, v60
	v_mul_f16_sdwa v33, v61, v33 dst_sel:DWORD dst_unused:UNUSED_PAD src0_sel:WORD_1 src1_sel:DWORD
	v_mul_f16_sdwa v60, v62, v72 dst_sel:DWORD dst_unused:UNUSED_PAD src0_sel:WORD_1 src1_sel:DWORD
	v_fma_f16 v33, v61, v73, -v33
	v_fma_f16 v73, v62, v37, v60
	v_mul_f16_sdwa v37, v62, v37 dst_sel:DWORD dst_unused:UNUSED_PAD src0_sel:WORD_1 src1_sel:DWORD
	v_mul_f16_sdwa v60, v63, v71 dst_sel:DWORD dst_unused:UNUSED_PAD src0_sel:WORD_1 src1_sel:DWORD
	v_fma_f16 v37, v62, v72, -v37
	v_fma_f16 v72, v63, v31, v60
	global_load_dwordx2 v[60:61], v75, s[8:9] offset:584
	v_mul_f16_sdwa v31, v63, v31 dst_sel:DWORD dst_unused:UNUSED_PAD src0_sel:WORD_1 src1_sel:DWORD
	v_fma_f16 v31, v63, v71, -v31
	s_waitcnt vmcnt(0)
	v_mul_f16_sdwa v62, v60, v70 dst_sel:DWORD dst_unused:UNUSED_PAD src0_sel:WORD_1 src1_sel:DWORD
	v_fma_f16 v71, v60, v35, v62
	v_mul_f16_sdwa v35, v60, v35 dst_sel:DWORD dst_unused:UNUSED_PAD src0_sel:WORD_1 src1_sel:DWORD
	v_fma_f16 v35, v60, v70, -v35
	v_mul_f16_sdwa v60, v61, v18 dst_sel:DWORD dst_unused:UNUSED_PAD src0_sel:WORD_1 src1_sel:DWORD
	v_fma_f16 v70, v61, v29, v60
	v_mul_f16_sdwa v29, v61, v29 dst_sel:DWORD dst_unused:UNUSED_PAD src0_sel:WORD_1 src1_sel:DWORD
	v_fma_f16 v29, v61, v18, -v29
	v_mul_i32_i24_e32 v18, 6, v2
	v_lshlrev_b64 v[18:19], 2, v[18:19]
	v_mov_b32_e32 v60, s9
	v_add_co_u32_e64 v18, s[2:3], s8, v18
	v_addc_co_u32_e64 v19, s[2:3], v60, v19, s[2:3]
	global_load_dwordx4 v[60:63], v[18:19], off offset:568
	s_waitcnt vmcnt(0)
	v_mul_f16_sdwa v75, v60, v69 dst_sel:DWORD dst_unused:UNUSED_PAD src0_sel:WORD_1 src1_sel:DWORD
	global_load_dwordx2 v[18:19], v[18:19], off offset:584
	v_fma_f16 v75, v60, v32, v75
	v_mul_f16_sdwa v32, v60, v32 dst_sel:DWORD dst_unused:UNUSED_PAD src0_sel:WORD_1 src1_sel:DWORD
	v_fma_f16 v32, v60, v69, -v32
	v_mul_f16_sdwa v60, v61, v68 dst_sel:DWORD dst_unused:UNUSED_PAD src0_sel:WORD_1 src1_sel:DWORD
	v_fma_f16 v60, v61, v36, v60
	v_mul_f16_sdwa v36, v61, v36 dst_sel:DWORD dst_unused:UNUSED_PAD src0_sel:WORD_1 src1_sel:DWORD
	v_fma_f16 v36, v61, v68, -v36
	v_mul_f16_sdwa v61, v64, v62 dst_sel:DWORD dst_unused:UNUSED_PAD src0_sel:DWORD src1_sel:WORD_1
	v_fma_f16 v61, v30, v62, v61
	v_mul_f16_sdwa v30, v30, v62 dst_sel:DWORD dst_unused:UNUSED_PAD src0_sel:DWORD src1_sel:WORD_1
	v_fma_f16 v30, v64, v62, -v30
	v_mul_f16_sdwa v62, v65, v63 dst_sel:DWORD dst_unused:UNUSED_PAD src0_sel:DWORD src1_sel:WORD_1
	v_fma_f16 v62, v34, v63, v62
	v_mul_f16_sdwa v34, v34, v63 dst_sel:DWORD dst_unused:UNUSED_PAD src0_sel:DWORD src1_sel:WORD_1
	v_fma_f16 v34, v65, v63, -v34
	v_add_f16_e32 v64, v27, v29
	v_sub_f16_e32 v27, v27, v29
	v_add_f16_e32 v29, v74, v71
	v_sub_f16_e32 v65, v76, v70
	;; [unrolled: 2-line block ×3, first 2 shown]
	v_sub_f16_e32 v31, v31, v37
	s_waitcnt lgkmcnt(0)
	; wave barrier
	s_waitcnt vmcnt(0)
	v_mul_f16_sdwa v63, v66, v18 dst_sel:DWORD dst_unused:UNUSED_PAD src0_sel:DWORD src1_sel:WORD_1
	v_fma_f16 v63, v28, v18, v63
	v_mul_f16_sdwa v28, v28, v18 dst_sel:DWORD dst_unused:UNUSED_PAD src0_sel:DWORD src1_sel:WORD_1
	v_fma_f16 v18, v66, v18, -v28
	v_mul_f16_sdwa v28, v67, v19 dst_sel:DWORD dst_unused:UNUSED_PAD src0_sel:DWORD src1_sel:WORD_1
	v_fma_f16 v28, v59, v19, v28
	v_mul_f16_sdwa v59, v59, v19 dst_sel:DWORD dst_unused:UNUSED_PAD src0_sel:DWORD src1_sel:WORD_1
	v_fma_f16 v19, v67, v19, -v59
	v_add_f16_e32 v59, v76, v70
	v_add_f16_e32 v66, v33, v35
	v_sub_f16_e32 v67, v74, v71
	v_sub_f16_e32 v33, v33, v35
	v_add_f16_e32 v35, v73, v72
	v_add_f16_e32 v37, v29, v59
	;; [unrolled: 1-line block ×3, first 2 shown]
	v_sub_f16_e32 v71, v29, v59
	v_sub_f16_e32 v72, v66, v64
	;; [unrolled: 1-line block ×6, first 2 shown]
	v_add_f16_e32 v73, v69, v67
	v_add_f16_e32 v74, v31, v33
	v_sub_f16_e32 v76, v69, v67
	v_sub_f16_e32 v77, v31, v33
	;; [unrolled: 1-line block ×4, first 2 shown]
	v_add_f16_e32 v35, v35, v37
	v_add_f16_e32 v37, v68, v70
	v_sub_f16_e32 v69, v65, v69
	v_sub_f16_e32 v31, v27, v31
	v_add_f16_e32 v65, v73, v65
	v_add_f16_e32 v27, v74, v27
	;; [unrolled: 1-line block ×3, first 2 shown]
	v_add_f16_sdwa v26, v26, v37 dst_sel:DWORD dst_unused:UNUSED_PAD src0_sel:WORD_1 src1_sel:DWORD
	v_mul_f16_e32 v59, 0x3a52, v59
	v_mul_f16_e32 v64, 0x3a52, v64
	;; [unrolled: 1-line block ×8, first 2 shown]
	v_fma_f16 v35, v35, s7, v68
	v_fma_f16 v37, v37, s7, v26
	;; [unrolled: 1-line block ×4, first 2 shown]
	v_fma_f16 v70, v71, s5, -v70
	v_fma_f16 v73, v72, s5, -v73
	;; [unrolled: 1-line block ×4, first 2 shown]
	v_fma_f16 v71, v69, s15, v74
	v_fma_f16 v72, v31, s15, v76
	v_fma_f16 v67, v67, s4, -v74
	v_fma_f16 v33, v33, s4, -v76
	;; [unrolled: 1-line block ×4, first 2 shown]
	v_add_f16_e32 v29, v29, v35
	v_add_f16_e32 v66, v66, v37
	v_add_f16_e32 v70, v70, v35
	v_add_f16_e32 v73, v73, v37
	v_add_f16_e32 v35, v59, v35
	v_add_f16_e32 v37, v64, v37
	v_fma_f16 v59, v65, s11, v71
	v_fma_f16 v64, v27, s11, v72
	;; [unrolled: 1-line block ×6, first 2 shown]
	v_add_f16_e32 v31, v64, v29
	v_sub_f16_e32 v69, v66, v59
	v_add_f16_e32 v71, v27, v35
	v_sub_f16_e32 v72, v37, v65
	v_sub_f16_e32 v27, v35, v27
	v_add_f16_e32 v35, v65, v37
	v_sub_f16_e32 v29, v29, v64
	v_add_f16_e32 v37, v59, v66
	v_add_f16_e32 v59, v75, v28
	;; [unrolled: 1-line block ×3, first 2 shown]
	v_sub_f16_e32 v19, v32, v19
	v_add_f16_e32 v32, v60, v63
	v_add_f16_e32 v65, v36, v18
	v_sub_f16_e32 v60, v60, v63
	v_sub_f16_e32 v18, v36, v18
	v_add_f16_e32 v36, v61, v62
	v_add_f16_e32 v63, v30, v34
	v_sub_f16_e32 v61, v62, v61
	;; [unrolled: 4-line block ×3, first 2 shown]
	v_add_f16_e32 v76, v67, v73
	v_add_f16_e32 v33, v33, v70
	v_sub_f16_e32 v67, v73, v67
	v_sub_f16_e32 v28, v75, v28
	;; [unrolled: 1-line block ×8, first 2 shown]
	v_add_f16_e32 v73, v61, v60
	v_add_f16_e32 v75, v30, v18
	v_sub_f16_e32 v77, v61, v60
	v_sub_f16_e32 v78, v30, v18
	;; [unrolled: 1-line block ×3, first 2 shown]
	v_add_f16_e32 v34, v36, v34
	v_add_f16_e32 v36, v63, v62
	v_sub_f16_e32 v61, v28, v61
	v_sub_f16_e32 v30, v19, v30
	;; [unrolled: 1-line block ×3, first 2 shown]
	v_add_f16_e32 v28, v73, v28
	v_add_f16_e32 v19, v75, v19
	;; [unrolled: 1-line block ×3, first 2 shown]
	v_add_f16_sdwa v58, v58, v36 dst_sel:DWORD dst_unused:UNUSED_PAD src0_sel:WORD_1 src1_sel:DWORD
	v_mul_f16_e32 v59, 0x3a52, v59
	v_mul_f16_e32 v63, 0x3a52, v64
	;; [unrolled: 1-line block ×7, first 2 shown]
	v_fma_f16 v34, v34, s7, v62
	v_fma_f16 v36, v36, s7, v58
	;; [unrolled: 1-line block ×4, first 2 shown]
	v_fma_f16 v64, v66, s5, -v64
	v_fma_f16 v73, v70, s5, -v73
	;; [unrolled: 1-line block ×4, first 2 shown]
	v_fma_f16 v70, v30, s15, v77
	v_fma_f16 v18, v18, s4, -v77
	v_fma_f16 v30, v30, s10, -v79
	v_fma_f16 v66, v61, s15, v75
	v_add_f16_e32 v32, v32, v34
	v_add_f16_e32 v65, v65, v36
	;; [unrolled: 1-line block ×6, first 2 shown]
	v_fma_f16 v63, v19, s11, v70
	v_fma_f16 v18, v19, s11, v18
	;; [unrolled: 1-line block ×4, first 2 shown]
	v_add_f16_e32 v66, v19, v34
	v_sub_f16_e32 v34, v34, v19
	v_pack_b32_f16 v19, v68, v26
	v_pack_b32_f16 v26, v31, v69
	v_mul_f16_e32 v78, 0xbb00, v60
	ds_write2_b32 v38, v19, v26 offset1:144
	v_pack_b32_f16 v19, v71, v72
	v_pack_b32_f16 v26, v74, v76
	v_fma_f16 v60, v60, s4, -v75
	v_fma_f16 v61, v61, s10, -v78
	ds_write2_b32 v15, v19, v26 offset0:32 offset1:176
	v_pack_b32_f16 v15, v33, v67
	v_pack_b32_f16 v19, v27, v35
	v_fma_f16 v60, v28, s11, v60
	v_fma_f16 v28, v28, s11, v61
	v_add_f16_e32 v30, v63, v32
	v_sub_f16_e32 v61, v65, v59
	ds_write2_b32 v46, v15, v19 offset0:64 offset1:208
	v_pack_b32_f16 v15, v29, v37
	v_sub_f16_e32 v70, v36, v28
	v_sub_f16_e32 v75, v64, v18
	v_add_f16_e32 v77, v60, v73
	ds_write_b32 v38, v15 offset:3456
	v_add_u32_e32 v19, v47, v57
	v_pack_b32_f16 v15, v62, v58
	v_pack_b32_f16 v26, v30, v61
	v_add_f16_e32 v18, v18, v64
	v_sub_f16_e32 v60, v73, v60
	v_add_f16_e32 v28, v28, v36
	ds_write2_b32 v19, v15, v26 offset1:144
	v_pack_b32_f16 v15, v66, v70
	v_pack_b32_f16 v26, v75, v77
	v_add_u32_e32 v27, 0x400, v19
	v_sub_f16_e32 v32, v32, v63
	v_add_f16_e32 v36, v59, v65
	ds_write2_b32 v27, v15, v26 offset0:32 offset1:176
	v_pack_b32_f16 v15, v18, v60
	v_pack_b32_f16 v18, v34, v28
	v_add_u32_e32 v26, 0x800, v19
	ds_write2_b32 v26, v15, v18 offset0:64 offset1:208
	v_pack_b32_f16 v15, v32, v36
	ds_write_b32 v19, v15 offset:3456
	s_and_saveexec_b64 s[2:3], s[0:1]
	s_cbranch_execz .LBB0_17
; %bb.16:
	v_subrev_u32_e32 v15, 32, v0
	v_cndmask_b32_e64 v15, v15, v17, s[0:1]
	v_mul_i32_i24_e32 v26, 6, v15
	v_mov_b32_e32 v27, 0
	v_lshlrev_b64 v[26:27], 2, v[26:27]
	v_mov_b32_e32 v15, s9
	v_add_co_u32_e64 v30, s[0:1], s8, v26
	v_addc_co_u32_e64 v31, s[0:1], v15, v27, s[0:1]
	global_load_dwordx4 v[26:29], v[30:31], off offset:568
	global_load_dwordx2 v[32:33], v[30:31], off offset:584
	s_waitcnt vmcnt(1)
	v_mul_f16_sdwa v15, v52, v26 dst_sel:DWORD dst_unused:UNUSED_PAD src0_sel:DWORD src1_sel:WORD_1
	s_waitcnt vmcnt(0)
	v_mul_f16_sdwa v18, v56, v33 dst_sel:DWORD dst_unused:UNUSED_PAD src0_sel:DWORD src1_sel:WORD_1
	v_mul_f16_sdwa v30, v49, v29 dst_sel:DWORD dst_unused:UNUSED_PAD src0_sel:DWORD src1_sel:WORD_1
	;; [unrolled: 1-line block ×11, first 2 shown]
	v_fma_f16 v15, v20, v26, v15
	v_fma_f16 v18, v25, v33, v18
	;; [unrolled: 1-line block ×6, first 2 shown]
	v_fma_f16 v24, v56, v33, -v36
	v_fma_f16 v25, v52, v26, -v37
	;; [unrolled: 1-line block ×6, first 2 shown]
	v_sub_f16_e32 v30, v15, v18
	v_sub_f16_e32 v31, v20, v22
	;; [unrolled: 1-line block ×3, first 2 shown]
	v_add_f16_e32 v33, v25, v24
	v_add_f16_e32 v35, v27, v29
	;; [unrolled: 1-line block ×5, first 2 shown]
	v_sub_f16_e32 v21, v25, v24
	v_sub_f16_e32 v22, v28, v26
	;; [unrolled: 1-line block ×3, first 2 shown]
	v_add_f16_e32 v34, v26, v28
	v_add_f16_e32 v29, v35, v33
	v_add_f16_e32 v37, v20, v15
	v_sub_f16_e32 v46, v21, v22
	v_sub_f16_e32 v47, v22, v23
	v_add_f16_e32 v22, v22, v23
	v_sub_f16_e32 v24, v30, v31
	v_sub_f16_e32 v25, v31, v32
	v_add_f16_e32 v26, v31, v32
	v_sub_f16_e32 v27, v33, v34
	v_sub_f16_e32 v28, v34, v35
	;; [unrolled: 1-line block ×5, first 2 shown]
	v_add_f16_e32 v29, v34, v29
	v_add_f16_e32 v18, v18, v37
	;; [unrolled: 1-line block ×3, first 2 shown]
	v_sub_f16_e32 v21, v23, v21
	v_sub_f16_e32 v33, v35, v33
	;; [unrolled: 1-line block ×3, first 2 shown]
	v_mul_f16_e32 v20, 0x3846, v25
	v_add_f16_e32 v25, v26, v30
	v_mul_f16_e32 v26, 0x3a52, v27
	v_mul_f16_e32 v27, 0x2b26, v28
	;; [unrolled: 1-line block ×6, first 2 shown]
	v_add_f16_e32 v47, v51, v29
	v_add_f16_e32 v49, v50, v18
	v_mul_f16_e32 v23, 0xbb00, v21
	v_fma_f16 v37, v24, s15, v20
	v_fma_f16 v28, v28, s6, v26
	;; [unrolled: 1-line block ×3, first 2 shown]
	v_fma_f16 v24, v24, s10, -v35
	v_fma_f16 v26, v33, s14, -v26
	;; [unrolled: 1-line block ×3, first 2 shown]
	v_fma_f16 v29, v29, s7, v47
	v_fma_f16 v18, v18, s7, v49
	v_fma_f16 v23, v46, s10, -v23
	v_fma_f16 v27, v33, s5, -v27
	;; [unrolled: 1-line block ×5, first 2 shown]
	v_fma_f16 v50, v46, s15, v34
	v_fma_f16 v24, v25, s11, v24
	v_add_f16_e32 v26, v26, v29
	v_add_f16_e32 v30, v30, v18
	v_fma_f16 v23, v22, s11, v23
	v_add_f16_e32 v27, v27, v29
	v_fma_f16 v20, v25, s11, v20
	v_fma_f16 v21, v22, s11, v21
	v_add_f16_e32 v15, v15, v18
	v_fma_f16 v35, v25, s11, v37
	v_fma_f16 v37, v22, s11, v50
	v_add_f16_e32 v36, v36, v18
	v_sub_f16_e32 v25, v27, v20
	v_add_f16_e32 v18, v21, v15
	v_add_f16_e32 v20, v20, v27
	v_sub_f16_e32 v15, v15, v21
	v_sub_f16_e32 v21, v26, v24
	v_add_f16_e32 v22, v23, v30
	v_add_f16_e32 v28, v28, v29
	;; [unrolled: 1-line block ×3, first 2 shown]
	v_sub_f16_e32 v46, v30, v23
	v_pack_b32_f16 v21, v22, v21
	v_pack_b32_f16 v15, v15, v20
	v_add_u32_e32 v20, 0x600, v38
	v_add_f16_e32 v50, v35, v28
	v_sub_f16_e32 v51, v36, v37
	v_sub_f16_e32 v23, v28, v35
	v_add_f16_e32 v24, v37, v36
	ds_write2_b32 v20, v21, v15 offset0:16 offset1:160
	v_pack_b32_f16 v15, v18, v25
	v_pack_b32_f16 v18, v46, v52
	v_add_u32_e32 v20, 0xa00, v38
	v_pack_b32_f16 v26, v49, v47
	v_pack_b32_f16 v23, v24, v23
	v_add_u32_e32 v24, 0x100, v38
	ds_write2_b32 v20, v15, v18 offset0:48 offset1:192
	v_pack_b32_f16 v15, v51, v50
	ds_write2_b32 v24, v26, v23 offset0:48 offset1:192
	ds_write_b32 v38, v15 offset:3904
.LBB0_17:
	s_or_b64 exec, exec, s[2:3]
	s_waitcnt lgkmcnt(0)
	; wave barrier
	s_waitcnt lgkmcnt(0)
	ds_read_b32 v18, v38
	v_sub_u32_e32 v20, 0, v1
	v_cmp_ne_u32_e64 s[0:1], 0, v0
                                        ; implicit-def: $vgpr27
                                        ; implicit-def: $vgpr15
                                        ; implicit-def: $vgpr26
	s_and_saveexec_b64 s[2:3], s[0:1]
	s_xor_b64 s[2:3], exec, s[2:3]
	s_cbranch_execz .LBB0_19
; %bb.18:
	v_mov_b32_e32 v1, 0
	v_lshlrev_b64 v[21:22], 2, v[0:1]
	v_mov_b32_e32 v1, s9
	v_add_co_u32_e64 v21, s[0:1], s8, v21
	v_addc_co_u32_e64 v22, s[0:1], v1, v22, s[0:1]
	global_load_dword v1, v[21:22], off offset:4024
	ds_read_b32 v15, v20 offset:4032
	s_mov_b32 s0, 0xffff
	s_waitcnt lgkmcnt(0)
	v_pk_add_f16 v21, v18, v15 neg_lo:[0,1] neg_hi:[0,1]
	v_pk_add_f16 v15, v15, v18
	v_bfi_b32 v18, s0, v21, v15
	v_pk_mul_f16 v18, v18, 0.5 op_sel_hi:[1,0]
	v_bfi_b32 v15, s0, v15, v21
	v_pk_mul_f16 v21, v15, 0.5 op_sel_hi:[1,0]
	s_waitcnt vmcnt(0)
	v_pk_mul_f16 v22, v1, v18 op_sel:[1,0]
	v_pk_mul_f16 v1, v1, v18 op_sel_hi:[0,1]
	v_pk_fma_f16 v15, v15, 0.5, v22 op_sel_hi:[1,0,1]
	v_sub_f16_e32 v18, v21, v22
	v_sub_f16_sdwa v21, v22, v21 dst_sel:DWORD dst_unused:UNUSED_PAD src0_sel:WORD_1 src1_sel:WORD_1
	v_pk_add_f16 v22, v15, v1 op_sel:[0,1] op_sel_hi:[1,0]
	v_pk_add_f16 v23, v15, v1 op_sel:[0,1] op_sel_hi:[1,0] neg_lo:[0,1] neg_hi:[0,1]
	v_sub_f16_sdwa v15, v18, v1 dst_sel:DWORD dst_unused:UNUSED_PAD src0_sel:DWORD src1_sel:WORD_1
	v_bfi_b32 v27, s0, v22, v23
	v_sub_f16_e32 v26, v21, v1
                                        ; implicit-def: $vgpr18
.LBB0_19:
	s_or_saveexec_b64 s[0:1], s[2:3]
	v_sub_u32_e32 v25, 0, v3
	v_sub_u32_e32 v24, 0, v7
	;; [unrolled: 1-line block ×6, first 2 shown]
	s_xor_b64 exec, exec, s[0:1]
	s_cbranch_execz .LBB0_21
; %bb.20:
	v_mov_b32_e32 v26, 0
	ds_read_u16 v3, v26 offset:2018
	s_waitcnt lgkmcnt(1)
	v_alignbit_b32 v7, s0, v18, 16
	v_pk_add_f16 v7, v7, v18
	v_sub_f16_sdwa v15, v18, v18 dst_sel:DWORD dst_unused:UNUSED_PAD src0_sel:DWORD src1_sel:WORD_1
	v_pack_b32_f16 v27, v7, 0
	s_waitcnt lgkmcnt(0)
	v_xor_b32_e32 v3, 0x8000, v3
	ds_write_b16 v26, v3 offset:2018
.LBB0_21:
	s_or_b64 exec, exec, s[0:1]
	v_mov_b32_e32 v3, 0
	v_lshlrev_b64 v[28:29], 2, v[2:3]
	v_mov_b32_e32 v2, s9
	v_add_co_u32_e64 v28, s[0:1], s8, v28
	v_addc_co_u32_e64 v29, s[0:1], v2, v29, s[0:1]
	global_load_dword v28, v[28:29], off offset:4024
	s_waitcnt lgkmcnt(0)
	v_mov_b32_e32 v18, v3
	v_lshlrev_b64 v[17:18], 2, v[17:18]
	v_mov_b32_e32 v7, v3
	v_add_co_u32_e64 v17, s[0:1], s8, v17
	v_addc_co_u32_e64 v18, s[0:1], v2, v18, s[0:1]
	global_load_dword v18, v[17:18], off offset:4024
	v_lshlrev_b64 v[6:7], 2, v[6:7]
	ds_write_b16 v20, v26 offset:4034
	ds_write_b32 v38, v27
	ds_write_b16 v20, v15 offset:4032
	v_add_co_u32_e64 v6, s[0:1], s8, v6
	v_addc_co_u32_e64 v7, s[0:1], v2, v7, s[0:1]
	ds_read_b32 v26, v19
	ds_read_b32 v27, v20 offset:3808
	global_load_dword v29, v[6:7], off offset:4024
	v_mov_b32_e32 v9, v3
	v_lshlrev_b64 v[8:9], 2, v[8:9]
	v_mov_b32_e32 v11, v3
	v_lshlrev_b64 v[10:11], 2, v[10:11]
	v_add_co_u32_e64 v6, s[0:1], s8, v8
	v_mov_b32_e32 v13, v3
	v_addc_co_u32_e64 v7, s[0:1], v2, v9, s[0:1]
	v_lshlrev_b64 v[12:13], 2, v[12:13]
	v_add_co_u32_e64 v8, s[0:1], s8, v10
	v_mov_b32_e32 v15, v3
	v_addc_co_u32_e64 v9, s[0:1], v2, v11, s[0:1]
	;; [unrolled: 4-line block ×3, first 2 shown]
	v_lshlrev_b64 v[16:17], 2, v[16:17]
	v_add_co_u32_e64 v12, s[0:1], s8, v14
	v_addc_co_u32_e64 v13, s[0:1], v2, v15, s[0:1]
	v_add_co_u32_e64 v14, s[0:1], s8, v16
	v_addc_co_u32_e64 v15, s[0:1], v2, v17, s[0:1]
	global_load_dword v2, v[6:7], off offset:4024
	global_load_dword v16, v[8:9], off offset:4024
	;; [unrolled: 1-line block ×5, first 2 shown]
	s_mov_b32 s2, 0xffff
	s_waitcnt lgkmcnt(0)
	v_pk_add_f16 v6, v26, v27 neg_lo:[0,1] neg_hi:[0,1]
	v_pk_add_f16 v7, v26, v27
	v_bfi_b32 v8, s2, v6, v7
	v_bfi_b32 v6, s2, v7, v6
	v_pk_mul_f16 v7, v8, 0.5 op_sel_hi:[1,0]
	v_pk_mul_f16 v6, v6, 0.5 op_sel_hi:[1,0]
	v_add_u32_e32 v1, v39, v1
	s_waitcnt vmcnt(7)
	v_pk_fma_f16 v8, v28, v7, v6 op_sel:[1,0,0]
	v_pk_mul_f16 v9, v28, v7 op_sel_hi:[0,1]
	v_pk_fma_f16 v10, v28, v7, v6 op_sel:[1,0,0] neg_lo:[1,0,0] neg_hi:[1,0,0]
	v_pk_fma_f16 v6, v28, v7, v6 op_sel:[1,0,0] neg_lo:[0,0,1] neg_hi:[0,0,1]
	v_pk_add_f16 v7, v8, v9 op_sel:[0,1] op_sel_hi:[1,0]
	v_pk_add_f16 v8, v8, v9 op_sel:[0,1] op_sel_hi:[1,0] neg_lo:[0,1] neg_hi:[0,1]
	v_pk_add_f16 v10, v10, v9 op_sel:[0,1] op_sel_hi:[1,0] neg_lo:[0,1] neg_hi:[0,1]
	;; [unrolled: 1-line block ×3, first 2 shown]
	v_bfi_b32 v7, s2, v7, v8
	v_bfi_b32 v6, s2, v10, v6
	ds_write_b32 v19, v7
	ds_write_b32 v20, v6 offset:3808
	ds_read_b32 v6, v48
	ds_read_b32 v7, v20 offset:3584
	s_waitcnt lgkmcnt(0)
	v_pk_add_f16 v8, v6, v7 neg_lo:[0,1] neg_hi:[0,1]
	v_pk_add_f16 v6, v6, v7
	v_bfi_b32 v7, s2, v8, v6
	v_bfi_b32 v6, s2, v6, v8
	v_pk_mul_f16 v7, v7, 0.5 op_sel_hi:[1,0]
	v_pk_mul_f16 v6, v6, 0.5 op_sel_hi:[1,0]
	s_waitcnt vmcnt(6)
	v_pk_fma_f16 v8, v18, v7, v6 op_sel:[1,0,0]
	v_pk_mul_f16 v9, v18, v7 op_sel_hi:[0,1]
	v_pk_fma_f16 v10, v18, v7, v6 op_sel:[1,0,0] neg_lo:[1,0,0] neg_hi:[1,0,0]
	v_pk_fma_f16 v6, v18, v7, v6 op_sel:[1,0,0] neg_lo:[0,0,1] neg_hi:[0,0,1]
	v_pk_add_f16 v7, v8, v9 op_sel:[0,1] op_sel_hi:[1,0]
	v_pk_add_f16 v8, v8, v9 op_sel:[0,1] op_sel_hi:[1,0] neg_lo:[0,1] neg_hi:[0,1]
	v_pk_add_f16 v10, v10, v9 op_sel:[0,1] op_sel_hi:[1,0] neg_lo:[0,1] neg_hi:[0,1]
	;; [unrolled: 1-line block ×3, first 2 shown]
	v_bfi_b32 v7, s2, v7, v8
	v_bfi_b32 v6, s2, v10, v6
	ds_write_b32 v48, v7
	ds_write_b32 v20, v6 offset:3584
	v_add_u32_e32 v6, v44, v25
	ds_read_b32 v7, v6
	ds_read_b32 v8, v20 offset:3360
	s_waitcnt lgkmcnt(0)
	v_pk_add_f16 v9, v7, v8 neg_lo:[0,1] neg_hi:[0,1]
	v_pk_add_f16 v7, v7, v8
	v_bfi_b32 v8, s2, v9, v7
	v_bfi_b32 v7, s2, v7, v9
	v_pk_mul_f16 v8, v8, 0.5 op_sel_hi:[1,0]
	v_pk_mul_f16 v7, v7, 0.5 op_sel_hi:[1,0]
	s_waitcnt vmcnt(5)
	v_pk_fma_f16 v9, v29, v8, v7 op_sel:[1,0,0]
	v_pk_mul_f16 v10, v29, v8 op_sel_hi:[0,1]
	v_pk_add_f16 v11, v9, v10 op_sel:[0,1] op_sel_hi:[1,0]
	v_pk_add_f16 v9, v9, v10 op_sel:[0,1] op_sel_hi:[1,0] neg_lo:[0,1] neg_hi:[0,1]
	v_bfi_b32 v9, s2, v11, v9
	v_pk_fma_f16 v11, v29, v8, v7 op_sel:[1,0,0] neg_lo:[1,0,0] neg_hi:[1,0,0]
	v_pk_fma_f16 v7, v29, v8, v7 op_sel:[1,0,0] neg_lo:[0,0,1] neg_hi:[0,0,1]
	v_pk_add_f16 v11, v11, v10 op_sel:[0,1] op_sel_hi:[1,0] neg_lo:[0,1] neg_hi:[0,1]
	v_pk_add_f16 v7, v7, v10 op_sel:[0,1] op_sel_hi:[1,0] neg_lo:[0,1] neg_hi:[0,1]
	ds_write_b32 v6, v9
	v_bfi_b32 v6, s2, v11, v7
	ds_write_b32 v20, v6 offset:3360
	v_add_u32_e32 v6, v43, v24
	ds_read_b32 v7, v6
	ds_read_b32 v8, v20 offset:3136
	s_waitcnt lgkmcnt(0)
	v_pk_add_f16 v9, v7, v8 neg_lo:[0,1] neg_hi:[0,1]
	v_pk_add_f16 v7, v7, v8
	v_bfi_b32 v8, s2, v9, v7
	v_bfi_b32 v7, s2, v7, v9
	v_pk_mul_f16 v8, v8, 0.5 op_sel_hi:[1,0]
	v_pk_mul_f16 v7, v7, 0.5 op_sel_hi:[1,0]
	s_waitcnt vmcnt(4)
	v_pk_fma_f16 v9, v2, v8, v7 op_sel:[1,0,0]
	v_pk_mul_f16 v10, v2, v8 op_sel_hi:[0,1]
	v_pk_add_f16 v11, v9, v10 op_sel:[0,1] op_sel_hi:[1,0]
	v_pk_add_f16 v9, v9, v10 op_sel:[0,1] op_sel_hi:[1,0] neg_lo:[0,1] neg_hi:[0,1]
	v_bfi_b32 v9, s2, v11, v9
	v_pk_fma_f16 v11, v2, v8, v7 op_sel:[1,0,0] neg_lo:[1,0,0] neg_hi:[1,0,0]
	v_pk_fma_f16 v2, v2, v8, v7 op_sel:[1,0,0] neg_lo:[0,0,1] neg_hi:[0,0,1]
	v_pk_add_f16 v11, v11, v10 op_sel:[0,1] op_sel_hi:[1,0] neg_lo:[0,1] neg_hi:[0,1]
	v_pk_add_f16 v2, v2, v10 op_sel:[0,1] op_sel_hi:[1,0] neg_lo:[0,1] neg_hi:[0,1]
	v_bfi_b32 v2, s2, v11, v2
	ds_write_b32 v6, v9
	ds_write_b32 v20, v2 offset:3136
	v_add_u32_e32 v2, v42, v23
	ds_read_b32 v6, v2
	ds_read_b32 v7, v20 offset:2912
	s_waitcnt lgkmcnt(0)
	v_pk_add_f16 v8, v6, v7 neg_lo:[0,1] neg_hi:[0,1]
	v_pk_add_f16 v6, v6, v7
	v_bfi_b32 v7, s2, v8, v6
	v_bfi_b32 v6, s2, v6, v8
	v_pk_mul_f16 v7, v7, 0.5 op_sel_hi:[1,0]
	v_pk_mul_f16 v6, v6, 0.5 op_sel_hi:[1,0]
	s_waitcnt vmcnt(3)
	v_pk_fma_f16 v8, v16, v7, v6 op_sel:[1,0,0]
	v_pk_mul_f16 v9, v16, v7 op_sel_hi:[0,1]
	v_pk_add_f16 v10, v8, v9 op_sel:[0,1] op_sel_hi:[1,0]
	v_pk_add_f16 v8, v8, v9 op_sel:[0,1] op_sel_hi:[1,0] neg_lo:[0,1] neg_hi:[0,1]
	v_bfi_b32 v8, s2, v10, v8
	v_pk_fma_f16 v10, v16, v7, v6 op_sel:[1,0,0] neg_lo:[1,0,0] neg_hi:[1,0,0]
	v_pk_fma_f16 v6, v16, v7, v6 op_sel:[1,0,0] neg_lo:[0,0,1] neg_hi:[0,0,1]
	v_pk_add_f16 v10, v10, v9 op_sel:[0,1] op_sel_hi:[1,0] neg_lo:[0,1] neg_hi:[0,1]
	v_pk_add_f16 v6, v6, v9 op_sel:[0,1] op_sel_hi:[1,0] neg_lo:[0,1] neg_hi:[0,1]
	ds_write_b32 v2, v8
	v_bfi_b32 v2, s2, v10, v6
	ds_write_b32 v20, v2 offset:2912
	v_add_u32_e32 v2, v41, v22
	ds_read_b32 v6, v2
	ds_read_b32 v7, v20 offset:2688
	s_waitcnt lgkmcnt(0)
	v_pk_add_f16 v8, v6, v7 neg_lo:[0,1] neg_hi:[0,1]
	v_pk_add_f16 v6, v6, v7
	v_bfi_b32 v7, s2, v8, v6
	v_bfi_b32 v6, s2, v6, v8
	v_pk_mul_f16 v7, v7, 0.5 op_sel_hi:[1,0]
	v_pk_mul_f16 v6, v6, 0.5 op_sel_hi:[1,0]
	s_waitcnt vmcnt(2)
	v_pk_fma_f16 v8, v17, v7, v6 op_sel:[1,0,0]
	v_pk_mul_f16 v9, v17, v7 op_sel_hi:[0,1]
	v_pk_add_f16 v10, v8, v9 op_sel:[0,1] op_sel_hi:[1,0]
	v_pk_add_f16 v8, v8, v9 op_sel:[0,1] op_sel_hi:[1,0] neg_lo:[0,1] neg_hi:[0,1]
	v_bfi_b32 v8, s2, v10, v8
	v_pk_fma_f16 v10, v17, v7, v6 op_sel:[1,0,0] neg_lo:[1,0,0] neg_hi:[1,0,0]
	v_pk_fma_f16 v6, v17, v7, v6 op_sel:[1,0,0] neg_lo:[0,0,1] neg_hi:[0,0,1]
	v_pk_add_f16 v10, v10, v9 op_sel:[0,1] op_sel_hi:[1,0] neg_lo:[0,1] neg_hi:[0,1]
	v_pk_add_f16 v6, v6, v9 op_sel:[0,1] op_sel_hi:[1,0] neg_lo:[0,1] neg_hi:[0,1]
	ds_write_b32 v2, v8
	v_bfi_b32 v2, s2, v10, v6
	;; [unrolled: 23-line block ×3, first 2 shown]
	ds_write_b32 v20, v2 offset:2464
	ds_read_b32 v2, v1
	ds_read_b32 v6, v20 offset:2240
	s_waitcnt lgkmcnt(0)
	v_pk_add_f16 v7, v2, v6 neg_lo:[0,1] neg_hi:[0,1]
	v_pk_add_f16 v2, v2, v6
	v_bfi_b32 v6, s2, v7, v2
	v_bfi_b32 v2, s2, v2, v7
	v_pk_mul_f16 v6, v6, 0.5 op_sel_hi:[1,0]
	v_pk_mul_f16 v2, v2, 0.5 op_sel_hi:[1,0]
	s_waitcnt vmcnt(0)
	v_pk_fma_f16 v7, v31, v6, v2 op_sel:[1,0,0]
	v_pk_mul_f16 v8, v31, v6 op_sel_hi:[0,1]
	v_pk_add_f16 v9, v7, v8 op_sel:[0,1] op_sel_hi:[1,0]
	v_pk_add_f16 v7, v7, v8 op_sel:[0,1] op_sel_hi:[1,0] neg_lo:[0,1] neg_hi:[0,1]
	v_bfi_b32 v7, s2, v9, v7
	v_pk_fma_f16 v9, v31, v6, v2 op_sel:[1,0,0] neg_lo:[1,0,0] neg_hi:[1,0,0]
	v_pk_fma_f16 v2, v31, v6, v2 op_sel:[1,0,0] neg_lo:[0,0,1] neg_hi:[0,0,1]
	v_pk_add_f16 v9, v9, v8 op_sel:[0,1] op_sel_hi:[1,0] neg_lo:[0,1] neg_hi:[0,1]
	v_pk_add_f16 v2, v2, v8 op_sel:[0,1] op_sel_hi:[1,0] neg_lo:[0,1] neg_hi:[0,1]
	ds_write_b32 v1, v7
	v_bfi_b32 v1, s2, v9, v2
	ds_write_b32 v20, v1 offset:2240
	s_waitcnt lgkmcnt(0)
	; wave barrier
	s_waitcnt lgkmcnt(0)
	s_and_saveexec_b64 s[0:1], vcc
	s_cbranch_execz .LBB0_24
; %bb.22:
	v_mov_b32_e32 v1, v3
	ds_read2_b32 v[6:7], v38 offset1:56
	v_mov_b32_e32 v3, s13
	v_add_co_u32_e32 v2, vcc, s12, v4
	v_addc_co_u32_e32 v3, vcc, v3, v5, vcc
	v_lshlrev_b64 v[4:5], 2, v[0:1]
	ds_read2_b32 v[8:9], v38 offset0:112 offset1:168
	v_add_co_u32_e32 v4, vcc, v2, v4
	v_add_u32_e32 v1, 0x200, v38
	v_addc_co_u32_e32 v5, vcc, v3, v5, vcc
	ds_read2_b32 v[10:11], v1 offset0:96 offset1:152
	s_waitcnt lgkmcnt(2)
	global_store_dword v[4:5], v6, off
	global_store_dword v[4:5], v7, off offset:224
	s_waitcnt lgkmcnt(1)
	global_store_dword v[4:5], v8, off offset:448
	global_store_dword v[4:5], v9, off offset:672
	s_waitcnt lgkmcnt(0)
	global_store_dword v[4:5], v10, off offset:896
	v_add_u32_e32 v1, 0x400, v38
	ds_read2_b32 v[6:7], v1 offset0:80 offset1:136
	ds_read2_b32 v[8:9], v1 offset0:192 offset1:248
	v_add_u32_e32 v1, 0x800, v38
	global_store_dword v[4:5], v11, off offset:1120
	ds_read2_b32 v[10:11], v1 offset0:48 offset1:104
	s_waitcnt lgkmcnt(2)
	global_store_dword v[4:5], v6, off offset:1344
	global_store_dword v[4:5], v7, off offset:1568
	s_waitcnt lgkmcnt(1)
	global_store_dword v[4:5], v8, off offset:1792
	global_store_dword v[4:5], v9, off offset:2016
	s_waitcnt lgkmcnt(0)
	global_store_dword v[4:5], v10, off offset:2240
	ds_read2_b32 v[6:7], v1 offset0:160 offset1:216
	v_add_u32_e32 v1, 0xc00, v38
	ds_read2_b32 v[8:9], v1 offset0:16 offset1:72
	global_store_dword v[4:5], v11, off offset:2464
	ds_read2_b32 v[10:11], v1 offset0:128 offset1:184
	v_cmp_eq_u32_e32 vcc, 55, v0
	s_waitcnt lgkmcnt(2)
	global_store_dword v[4:5], v6, off offset:2688
	global_store_dword v[4:5], v7, off offset:2912
	s_waitcnt lgkmcnt(1)
	global_store_dword v[4:5], v8, off offset:3136
	global_store_dword v[4:5], v9, off offset:3360
	;; [unrolled: 3-line block ×3, first 2 shown]
	s_and_b64 exec, exec, vcc
	s_cbranch_execz .LBB0_24
; %bb.23:
	v_mov_b32_e32 v0, 0
	ds_read_b32 v0, v0 offset:4032
	s_waitcnt lgkmcnt(0)
	global_store_dword v[2:3], v0, off offset:4032
.LBB0_24:
	s_endpgm
	.section	.rodata,"a",@progbits
	.p2align	6, 0x0
	.amdhsa_kernel fft_rtc_back_len1008_factors_2_2_2_2_3_3_7_wgs_56_tpt_56_halfLds_half_ip_CI_unitstride_sbrr_R2C_dirReg
		.amdhsa_group_segment_fixed_size 0
		.amdhsa_private_segment_fixed_size 0
		.amdhsa_kernarg_size 88
		.amdhsa_user_sgpr_count 6
		.amdhsa_user_sgpr_private_segment_buffer 1
		.amdhsa_user_sgpr_dispatch_ptr 0
		.amdhsa_user_sgpr_queue_ptr 0
		.amdhsa_user_sgpr_kernarg_segment_ptr 1
		.amdhsa_user_sgpr_dispatch_id 0
		.amdhsa_user_sgpr_flat_scratch_init 0
		.amdhsa_user_sgpr_private_segment_size 0
		.amdhsa_uses_dynamic_stack 0
		.amdhsa_system_sgpr_private_segment_wavefront_offset 0
		.amdhsa_system_sgpr_workgroup_id_x 1
		.amdhsa_system_sgpr_workgroup_id_y 0
		.amdhsa_system_sgpr_workgroup_id_z 0
		.amdhsa_system_sgpr_workgroup_info 0
		.amdhsa_system_vgpr_workitem_id 0
		.amdhsa_next_free_vgpr 80
		.amdhsa_next_free_sgpr 22
		.amdhsa_reserve_vcc 1
		.amdhsa_reserve_flat_scratch 0
		.amdhsa_float_round_mode_32 0
		.amdhsa_float_round_mode_16_64 0
		.amdhsa_float_denorm_mode_32 3
		.amdhsa_float_denorm_mode_16_64 3
		.amdhsa_dx10_clamp 1
		.amdhsa_ieee_mode 1
		.amdhsa_fp16_overflow 0
		.amdhsa_exception_fp_ieee_invalid_op 0
		.amdhsa_exception_fp_denorm_src 0
		.amdhsa_exception_fp_ieee_div_zero 0
		.amdhsa_exception_fp_ieee_overflow 0
		.amdhsa_exception_fp_ieee_underflow 0
		.amdhsa_exception_fp_ieee_inexact 0
		.amdhsa_exception_int_div_zero 0
	.end_amdhsa_kernel
	.text
.Lfunc_end0:
	.size	fft_rtc_back_len1008_factors_2_2_2_2_3_3_7_wgs_56_tpt_56_halfLds_half_ip_CI_unitstride_sbrr_R2C_dirReg, .Lfunc_end0-fft_rtc_back_len1008_factors_2_2_2_2_3_3_7_wgs_56_tpt_56_halfLds_half_ip_CI_unitstride_sbrr_R2C_dirReg
                                        ; -- End function
	.section	.AMDGPU.csdata,"",@progbits
; Kernel info:
; codeLenInByte = 12964
; NumSgprs: 26
; NumVgprs: 80
; ScratchSize: 0
; MemoryBound: 0
; FloatMode: 240
; IeeeMode: 1
; LDSByteSize: 0 bytes/workgroup (compile time only)
; SGPRBlocks: 3
; VGPRBlocks: 19
; NumSGPRsForWavesPerEU: 26
; NumVGPRsForWavesPerEU: 80
; Occupancy: 3
; WaveLimiterHint : 1
; COMPUTE_PGM_RSRC2:SCRATCH_EN: 0
; COMPUTE_PGM_RSRC2:USER_SGPR: 6
; COMPUTE_PGM_RSRC2:TRAP_HANDLER: 0
; COMPUTE_PGM_RSRC2:TGID_X_EN: 1
; COMPUTE_PGM_RSRC2:TGID_Y_EN: 0
; COMPUTE_PGM_RSRC2:TGID_Z_EN: 0
; COMPUTE_PGM_RSRC2:TIDIG_COMP_CNT: 0
	.type	__hip_cuid_c4805a553b8bfbb7,@object ; @__hip_cuid_c4805a553b8bfbb7
	.section	.bss,"aw",@nobits
	.globl	__hip_cuid_c4805a553b8bfbb7
__hip_cuid_c4805a553b8bfbb7:
	.byte	0                               ; 0x0
	.size	__hip_cuid_c4805a553b8bfbb7, 1

	.ident	"AMD clang version 19.0.0git (https://github.com/RadeonOpenCompute/llvm-project roc-6.4.0 25133 c7fe45cf4b819c5991fe208aaa96edf142730f1d)"
	.section	".note.GNU-stack","",@progbits
	.addrsig
	.addrsig_sym __hip_cuid_c4805a553b8bfbb7
	.amdgpu_metadata
---
amdhsa.kernels:
  - .args:
      - .actual_access:  read_only
        .address_space:  global
        .offset:         0
        .size:           8
        .value_kind:     global_buffer
      - .offset:         8
        .size:           8
        .value_kind:     by_value
      - .actual_access:  read_only
        .address_space:  global
        .offset:         16
        .size:           8
        .value_kind:     global_buffer
      - .actual_access:  read_only
        .address_space:  global
        .offset:         24
        .size:           8
        .value_kind:     global_buffer
      - .offset:         32
        .size:           8
        .value_kind:     by_value
      - .actual_access:  read_only
        .address_space:  global
        .offset:         40
        .size:           8
        .value_kind:     global_buffer
      - .actual_access:  read_only
        .address_space:  global
        .offset:         48
        .size:           8
        .value_kind:     global_buffer
      - .offset:         56
        .size:           4
        .value_kind:     by_value
      - .actual_access:  read_only
        .address_space:  global
        .offset:         64
        .size:           8
        .value_kind:     global_buffer
      - .actual_access:  read_only
        .address_space:  global
        .offset:         72
        .size:           8
        .value_kind:     global_buffer
      - .address_space:  global
        .offset:         80
        .size:           8
        .value_kind:     global_buffer
    .group_segment_fixed_size: 0
    .kernarg_segment_align: 8
    .kernarg_segment_size: 88
    .language:       OpenCL C
    .language_version:
      - 2
      - 0
    .max_flat_workgroup_size: 56
    .name:           fft_rtc_back_len1008_factors_2_2_2_2_3_3_7_wgs_56_tpt_56_halfLds_half_ip_CI_unitstride_sbrr_R2C_dirReg
    .private_segment_fixed_size: 0
    .sgpr_count:     26
    .sgpr_spill_count: 0
    .symbol:         fft_rtc_back_len1008_factors_2_2_2_2_3_3_7_wgs_56_tpt_56_halfLds_half_ip_CI_unitstride_sbrr_R2C_dirReg.kd
    .uniform_work_group_size: 1
    .uses_dynamic_stack: false
    .vgpr_count:     80
    .vgpr_spill_count: 0
    .wavefront_size: 64
amdhsa.target:   amdgcn-amd-amdhsa--gfx906
amdhsa.version:
  - 1
  - 2
...

	.end_amdgpu_metadata
